;; amdgpu-corpus repo=ROCm/rocFFT kind=compiled arch=gfx1201 opt=O3
	.text
	.amdgcn_target "amdgcn-amd-amdhsa--gfx1201"
	.amdhsa_code_object_version 6
	.protected	fft_rtc_back_len3840_factors_10_6_2_2_2_2_2_2_wgs_128_tpt_128_halfLds_dp_op_CI_CI_unitstride_sbrr_C2R_dirReg ; -- Begin function fft_rtc_back_len3840_factors_10_6_2_2_2_2_2_2_wgs_128_tpt_128_halfLds_dp_op_CI_CI_unitstride_sbrr_C2R_dirReg
	.globl	fft_rtc_back_len3840_factors_10_6_2_2_2_2_2_2_wgs_128_tpt_128_halfLds_dp_op_CI_CI_unitstride_sbrr_C2R_dirReg
	.p2align	8
	.type	fft_rtc_back_len3840_factors_10_6_2_2_2_2_2_2_wgs_128_tpt_128_halfLds_dp_op_CI_CI_unitstride_sbrr_C2R_dirReg,@function
fft_rtc_back_len3840_factors_10_6_2_2_2_2_2_2_wgs_128_tpt_128_halfLds_dp_op_CI_CI_unitstride_sbrr_C2R_dirReg: ; @fft_rtc_back_len3840_factors_10_6_2_2_2_2_2_2_wgs_128_tpt_128_halfLds_dp_op_CI_CI_unitstride_sbrr_C2R_dirReg
; %bb.0:
	s_clause 0x2
	s_load_b128 s[8:11], s[0:1], 0x0
	s_load_b128 s[4:7], s[0:1], 0x58
	;; [unrolled: 1-line block ×3, first 2 shown]
	v_mov_b32_e32 v3, 0
	v_mov_b32_e32 v1, 0
	v_dual_mov_b32 v2, 0 :: v_dual_mov_b32 v5, ttmp9
	s_mov_b32 s3, 0
	s_delay_alu instid0(VALU_DEP_3) | instskip(SKIP_2) | instid1(VALU_DEP_1)
	v_mov_b32_e32 v6, v3
	s_wait_kmcnt 0x0
	v_cmp_lt_u64_e64 s2, s[10:11], 2
	s_and_b32 vcc_lo, exec_lo, s2
	s_cbranch_vccnz .LBB0_8
; %bb.1:
	s_load_b64 s[20:21], s[0:1], 0x10
	v_mov_b32_e32 v1, 0
	v_mov_b32_e32 v2, 0
	s_add_nc_u64 s[16:17], s[14:15], 8
	s_add_nc_u64 s[18:19], s[12:13], 8
	s_mov_b64 s[22:23], 1
	s_delay_alu instid0(VALU_DEP_1)
	v_dual_mov_b32 v110, v2 :: v_dual_mov_b32 v109, v1
	s_wait_kmcnt 0x0
	s_add_nc_u64 s[20:21], s[20:21], 8
.LBB0_2:                                ; =>This Inner Loop Header: Depth=1
	s_load_b64 s[24:25], s[20:21], 0x0
                                        ; implicit-def: $vgpr114_vgpr115
	s_mov_b32 s2, exec_lo
	s_wait_kmcnt 0x0
	v_or_b32_e32 v4, s25, v6
	s_delay_alu instid0(VALU_DEP_1)
	v_cmpx_ne_u64_e32 0, v[3:4]
	s_wait_alu 0xfffe
	s_xor_b32 s26, exec_lo, s2
	s_cbranch_execz .LBB0_4
; %bb.3:                                ;   in Loop: Header=BB0_2 Depth=1
	s_cvt_f32_u32 s2, s24
	s_cvt_f32_u32 s27, s25
	s_sub_nc_u64 s[30:31], 0, s[24:25]
	s_wait_alu 0xfffe
	s_delay_alu instid0(SALU_CYCLE_1) | instskip(SKIP_1) | instid1(SALU_CYCLE_2)
	s_fmamk_f32 s2, s27, 0x4f800000, s2
	s_wait_alu 0xfffe
	v_s_rcp_f32 s2, s2
	s_delay_alu instid0(TRANS32_DEP_1) | instskip(SKIP_1) | instid1(SALU_CYCLE_2)
	s_mul_f32 s2, s2, 0x5f7ffffc
	s_wait_alu 0xfffe
	s_mul_f32 s27, s2, 0x2f800000
	s_wait_alu 0xfffe
	s_delay_alu instid0(SALU_CYCLE_2) | instskip(SKIP_1) | instid1(SALU_CYCLE_2)
	s_trunc_f32 s27, s27
	s_wait_alu 0xfffe
	s_fmamk_f32 s2, s27, 0xcf800000, s2
	s_cvt_u32_f32 s29, s27
	s_wait_alu 0xfffe
	s_delay_alu instid0(SALU_CYCLE_1) | instskip(SKIP_1) | instid1(SALU_CYCLE_2)
	s_cvt_u32_f32 s28, s2
	s_wait_alu 0xfffe
	s_mul_u64 s[34:35], s[30:31], s[28:29]
	s_wait_alu 0xfffe
	s_mul_hi_u32 s37, s28, s35
	s_mul_i32 s36, s28, s35
	s_mul_hi_u32 s2, s28, s34
	s_mul_i32 s33, s29, s34
	s_wait_alu 0xfffe
	s_add_nc_u64 s[36:37], s[2:3], s[36:37]
	s_mul_hi_u32 s27, s29, s34
	s_mul_hi_u32 s38, s29, s35
	s_add_co_u32 s2, s36, s33
	s_wait_alu 0xfffe
	s_add_co_ci_u32 s2, s37, s27
	s_mul_i32 s34, s29, s35
	s_add_co_ci_u32 s35, s38, 0
	s_wait_alu 0xfffe
	s_add_nc_u64 s[34:35], s[2:3], s[34:35]
	s_wait_alu 0xfffe
	v_add_co_u32 v4, s2, s28, s34
	s_delay_alu instid0(VALU_DEP_1) | instskip(SKIP_1) | instid1(VALU_DEP_1)
	s_cmp_lg_u32 s2, 0
	s_add_co_ci_u32 s29, s29, s35
	v_readfirstlane_b32 s28, v4
	s_wait_alu 0xfffe
	s_delay_alu instid0(VALU_DEP_1)
	s_mul_u64 s[30:31], s[30:31], s[28:29]
	s_wait_alu 0xfffe
	s_mul_hi_u32 s35, s28, s31
	s_mul_i32 s34, s28, s31
	s_mul_hi_u32 s2, s28, s30
	s_mul_i32 s33, s29, s30
	s_wait_alu 0xfffe
	s_add_nc_u64 s[34:35], s[2:3], s[34:35]
	s_mul_hi_u32 s27, s29, s30
	s_mul_hi_u32 s28, s29, s31
	s_wait_alu 0xfffe
	s_add_co_u32 s2, s34, s33
	s_add_co_ci_u32 s2, s35, s27
	s_mul_i32 s30, s29, s31
	s_add_co_ci_u32 s31, s28, 0
	s_wait_alu 0xfffe
	s_add_nc_u64 s[30:31], s[2:3], s[30:31]
	s_wait_alu 0xfffe
	v_add_co_u32 v4, s2, v4, s30
	s_delay_alu instid0(VALU_DEP_1) | instskip(SKIP_1) | instid1(VALU_DEP_1)
	s_cmp_lg_u32 s2, 0
	s_add_co_ci_u32 s2, s29, s31
	v_mul_hi_u32 v13, v5, v4
	s_wait_alu 0xfffe
	v_mad_co_u64_u32 v[7:8], null, v5, s2, 0
	v_mad_co_u64_u32 v[9:10], null, v6, v4, 0
	;; [unrolled: 1-line block ×3, first 2 shown]
	s_delay_alu instid0(VALU_DEP_3) | instskip(SKIP_1) | instid1(VALU_DEP_4)
	v_add_co_u32 v4, vcc_lo, v13, v7
	s_wait_alu 0xfffd
	v_add_co_ci_u32_e32 v7, vcc_lo, 0, v8, vcc_lo
	s_delay_alu instid0(VALU_DEP_2) | instskip(SKIP_1) | instid1(VALU_DEP_2)
	v_add_co_u32 v4, vcc_lo, v4, v9
	s_wait_alu 0xfffd
	v_add_co_ci_u32_e32 v4, vcc_lo, v7, v10, vcc_lo
	s_wait_alu 0xfffd
	v_add_co_ci_u32_e32 v7, vcc_lo, 0, v12, vcc_lo
	s_delay_alu instid0(VALU_DEP_2) | instskip(SKIP_1) | instid1(VALU_DEP_2)
	v_add_co_u32 v4, vcc_lo, v4, v11
	s_wait_alu 0xfffd
	v_add_co_ci_u32_e32 v9, vcc_lo, 0, v7, vcc_lo
	s_delay_alu instid0(VALU_DEP_2) | instskip(SKIP_1) | instid1(VALU_DEP_3)
	v_mul_lo_u32 v10, s25, v4
	v_mad_co_u64_u32 v[7:8], null, s24, v4, 0
	v_mul_lo_u32 v11, s24, v9
	s_delay_alu instid0(VALU_DEP_2) | instskip(NEXT) | instid1(VALU_DEP_2)
	v_sub_co_u32 v7, vcc_lo, v5, v7
	v_add3_u32 v8, v8, v11, v10
	s_delay_alu instid0(VALU_DEP_1) | instskip(SKIP_1) | instid1(VALU_DEP_1)
	v_sub_nc_u32_e32 v10, v6, v8
	s_wait_alu 0xfffd
	v_subrev_co_ci_u32_e64 v10, s2, s25, v10, vcc_lo
	v_add_co_u32 v11, s2, v4, 2
	s_wait_alu 0xf1ff
	v_add_co_ci_u32_e64 v12, s2, 0, v9, s2
	v_sub_co_u32 v13, s2, v7, s24
	v_sub_co_ci_u32_e32 v8, vcc_lo, v6, v8, vcc_lo
	s_wait_alu 0xf1ff
	v_subrev_co_ci_u32_e64 v10, s2, 0, v10, s2
	s_delay_alu instid0(VALU_DEP_3) | instskip(NEXT) | instid1(VALU_DEP_3)
	v_cmp_le_u32_e32 vcc_lo, s24, v13
	v_cmp_eq_u32_e64 s2, s25, v8
	s_wait_alu 0xfffd
	v_cndmask_b32_e64 v13, 0, -1, vcc_lo
	v_cmp_le_u32_e32 vcc_lo, s25, v10
	s_wait_alu 0xfffd
	v_cndmask_b32_e64 v14, 0, -1, vcc_lo
	v_cmp_le_u32_e32 vcc_lo, s24, v7
	;; [unrolled: 3-line block ×3, first 2 shown]
	s_wait_alu 0xfffd
	v_cndmask_b32_e64 v15, 0, -1, vcc_lo
	v_cmp_eq_u32_e32 vcc_lo, s25, v10
	s_wait_alu 0xf1ff
	s_delay_alu instid0(VALU_DEP_2)
	v_cndmask_b32_e64 v7, v15, v7, s2
	s_wait_alu 0xfffd
	v_cndmask_b32_e32 v10, v14, v13, vcc_lo
	v_add_co_u32 v13, vcc_lo, v4, 1
	s_wait_alu 0xfffd
	v_add_co_ci_u32_e32 v14, vcc_lo, 0, v9, vcc_lo
	s_delay_alu instid0(VALU_DEP_3) | instskip(SKIP_1) | instid1(VALU_DEP_2)
	v_cmp_ne_u32_e32 vcc_lo, 0, v10
	s_wait_alu 0xfffd
	v_cndmask_b32_e32 v8, v14, v12, vcc_lo
	v_cndmask_b32_e32 v10, v13, v11, vcc_lo
	v_cmp_ne_u32_e32 vcc_lo, 0, v7
	s_wait_alu 0xfffd
	s_delay_alu instid0(VALU_DEP_2)
	v_dual_cndmask_b32 v115, v9, v8 :: v_dual_cndmask_b32 v114, v4, v10
.LBB0_4:                                ;   in Loop: Header=BB0_2 Depth=1
	s_wait_alu 0xfffe
	s_and_not1_saveexec_b32 s2, s26
	s_cbranch_execz .LBB0_6
; %bb.5:                                ;   in Loop: Header=BB0_2 Depth=1
	v_cvt_f32_u32_e32 v4, s24
	s_sub_co_i32 s26, 0, s24
	v_mov_b32_e32 v115, v3
	s_delay_alu instid0(VALU_DEP_2) | instskip(NEXT) | instid1(TRANS32_DEP_1)
	v_rcp_iflag_f32_e32 v4, v4
	v_mul_f32_e32 v4, 0x4f7ffffe, v4
	s_delay_alu instid0(VALU_DEP_1) | instskip(SKIP_1) | instid1(VALU_DEP_1)
	v_cvt_u32_f32_e32 v4, v4
	s_wait_alu 0xfffe
	v_mul_lo_u32 v7, s26, v4
	s_delay_alu instid0(VALU_DEP_1) | instskip(NEXT) | instid1(VALU_DEP_1)
	v_mul_hi_u32 v7, v4, v7
	v_add_nc_u32_e32 v4, v4, v7
	s_delay_alu instid0(VALU_DEP_1) | instskip(NEXT) | instid1(VALU_DEP_1)
	v_mul_hi_u32 v4, v5, v4
	v_mul_lo_u32 v7, v4, s24
	v_add_nc_u32_e32 v8, 1, v4
	s_delay_alu instid0(VALU_DEP_2) | instskip(NEXT) | instid1(VALU_DEP_1)
	v_sub_nc_u32_e32 v7, v5, v7
	v_subrev_nc_u32_e32 v9, s24, v7
	v_cmp_le_u32_e32 vcc_lo, s24, v7
	s_wait_alu 0xfffd
	s_delay_alu instid0(VALU_DEP_2) | instskip(NEXT) | instid1(VALU_DEP_1)
	v_dual_cndmask_b32 v7, v7, v9 :: v_dual_cndmask_b32 v4, v4, v8
	v_cmp_le_u32_e32 vcc_lo, s24, v7
	s_delay_alu instid0(VALU_DEP_2) | instskip(SKIP_1) | instid1(VALU_DEP_1)
	v_add_nc_u32_e32 v8, 1, v4
	s_wait_alu 0xfffd
	v_cndmask_b32_e32 v114, v4, v8, vcc_lo
.LBB0_6:                                ;   in Loop: Header=BB0_2 Depth=1
	s_wait_alu 0xfffe
	s_or_b32 exec_lo, exec_lo, s2
	v_mul_lo_u32 v4, v115, s24
	s_delay_alu instid0(VALU_DEP_2)
	v_mul_lo_u32 v9, v114, s25
	s_load_b64 s[26:27], s[18:19], 0x0
	v_mad_co_u64_u32 v[7:8], null, v114, s24, 0
	s_load_b64 s[24:25], s[16:17], 0x0
	s_add_nc_u64 s[22:23], s[22:23], 1
	s_add_nc_u64 s[16:17], s[16:17], 8
	s_wait_alu 0xfffe
	v_cmp_ge_u64_e64 s2, s[22:23], s[10:11]
	s_add_nc_u64 s[18:19], s[18:19], 8
	s_add_nc_u64 s[20:21], s[20:21], 8
	v_add3_u32 v4, v8, v9, v4
	v_sub_co_u32 v5, vcc_lo, v5, v7
	s_wait_alu 0xfffd
	s_delay_alu instid0(VALU_DEP_2) | instskip(SKIP_2) | instid1(VALU_DEP_1)
	v_sub_co_ci_u32_e32 v4, vcc_lo, v6, v4, vcc_lo
	s_and_b32 vcc_lo, exec_lo, s2
	s_wait_kmcnt 0x0
	v_mul_lo_u32 v6, s26, v4
	v_mul_lo_u32 v7, s27, v5
	v_mad_co_u64_u32 v[1:2], null, s26, v5, v[1:2]
	v_mul_lo_u32 v4, s24, v4
	v_mul_lo_u32 v8, s25, v5
	v_mad_co_u64_u32 v[109:110], null, s24, v5, v[109:110]
	s_delay_alu instid0(VALU_DEP_4) | instskip(NEXT) | instid1(VALU_DEP_2)
	v_add3_u32 v2, v7, v2, v6
	v_add3_u32 v110, v8, v110, v4
	s_wait_alu 0xfffe
	s_cbranch_vccnz .LBB0_9
; %bb.7:                                ;   in Loop: Header=BB0_2 Depth=1
	v_dual_mov_b32 v5, v114 :: v_dual_mov_b32 v6, v115
	s_branch .LBB0_2
.LBB0_8:
	v_dual_mov_b32 v110, v2 :: v_dual_mov_b32 v109, v1
	v_dual_mov_b32 v115, v6 :: v_dual_mov_b32 v114, v5
.LBB0_9:
	s_load_b64 s[0:1], s[0:1], 0x28
	s_lshl_b64 s[10:11], s[10:11], 3
                                        ; implicit-def: $vgpr111
                                        ; implicit-def: $vgpr5_vgpr6
	s_wait_alu 0xfffe
	s_add_nc_u64 s[2:3], s[14:15], s[10:11]
	s_wait_kmcnt 0x0
	v_cmp_gt_u64_e32 vcc_lo, s[0:1], v[114:115]
	v_cmp_le_u64_e64 s0, s[0:1], v[114:115]
	s_delay_alu instid0(VALU_DEP_1)
	s_and_saveexec_b32 s1, s0
	s_wait_alu 0xfffe
	s_xor_b32 s0, exec_lo, s1
; %bb.10:
	v_mov_b32_e32 v1, 0
	s_delay_alu instid0(VALU_DEP_1)
	v_dual_mov_b32 v111, v0 :: v_dual_mov_b32 v6, v1
	v_mov_b32_e32 v5, v0
                                        ; implicit-def: $vgpr1_vgpr2
; %bb.11:
	s_wait_alu 0xfffe
	s_or_saveexec_b32 s1, s0
	s_load_b64 s[2:3], s[2:3], 0x0
                                        ; implicit-def: $vgpr113
	s_xor_b32 exec_lo, exec_lo, s1
	s_cbranch_execz .LBB0_15
; %bb.12:
	s_add_nc_u64 s[10:11], s[12:13], s[10:11]
	s_load_b64 s[10:11], s[10:11], 0x0
	s_wait_kmcnt 0x0
	v_mul_lo_u32 v5, s11, v114
	v_mul_lo_u32 v6, s10, v115
	v_mad_co_u64_u32 v[3:4], null, s10, v114, 0
	s_delay_alu instid0(VALU_DEP_1) | instskip(SKIP_1) | instid1(VALU_DEP_2)
	v_add3_u32 v4, v4, v6, v5
	v_lshlrev_b64_e32 v[5:6], 4, v[1:2]
	v_lshlrev_b64_e32 v[3:4], 4, v[3:4]
	s_delay_alu instid0(VALU_DEP_1) | instskip(SKIP_1) | instid1(VALU_DEP_2)
	v_add_co_u32 v1, s0, s4, v3
	s_wait_alu 0xf1ff
	v_add_co_ci_u32_e64 v3, s0, s5, v4, s0
	s_delay_alu instid0(VALU_DEP_2) | instskip(SKIP_4) | instid1(VALU_DEP_2)
	v_add_co_u32 v2, s0, v1, v5
	v_mov_b32_e32 v1, 0
	v_lshlrev_b32_e32 v107, 4, v0
	s_wait_alu 0xf1ff
	v_add_co_ci_u32_e64 v3, s0, v3, v6, s0
	v_or_b32_e32 v108, 0x3800, v107
	v_add_co_u32 v4, s0, v2, v107
	v_or_b32_e32 v112, 0x7800, v107
	s_wait_alu 0xf1ff
	v_add_co_ci_u32_e64 v5, s0, 0, v3, s0
	v_add_co_u32 v55, s0, v2, v108
	v_or_b32_e32 v113, 0xb800, v107
	s_wait_alu 0xf1ff
	v_add_co_ci_u32_e64 v56, s0, 0, v3, s0
	v_add_co_u32 v87, s0, v2, v112
	s_wait_alu 0xf1ff
	v_add_co_ci_u32_e64 v88, s0, 0, v3, s0
	v_add_co_u32 v91, s0, v2, v113
	s_wait_alu 0xf1ff
	v_add_co_ci_u32_e64 v92, s0, 0, v3, s0
	s_clause 0x1d
	global_load_b128 v[7:10], v[4:5], off offset:2048
	global_load_b128 v[11:14], v[4:5], off offset:4096
	;; [unrolled: 1-line block ×12, first 2 shown]
	global_load_b128 v[55:58], v[55:56], off
	global_load_b128 v[59:62], v[4:5], off offset:28672
	global_load_b128 v[63:66], v[4:5], off offset:32768
	;; [unrolled: 1-line block ×7, first 2 shown]
	global_load_b128 v[87:90], v[87:88], off
	global_load_b128 v[91:94], v[91:92], off
	global_load_b128 v[95:98], v[4:5], off offset:45056
	global_load_b128 v[99:102], v[4:5], off offset:49152
	;; [unrolled: 1-line block ×6, first 2 shown]
	global_load_b128 v[128:131], v[4:5], off
	global_load_b128 v[132:135], v[4:5], off offset:59392
	v_mov_b32_e32 v6, v1
	v_cmp_eq_u32_e64 s0, 0x7f, v0
	v_dual_mov_b32 v111, v0 :: v_dual_add_nc_u32 v4, 0, v107
	v_mov_b32_e32 v5, v0
	v_add_nc_u32_e32 v107, 0, v108
	v_add_nc_u32_e32 v108, 0, v112
	;; [unrolled: 1-line block ×3, first 2 shown]
	s_wait_loadcnt 0x1d
	ds_store_b128 v4, v[7:10] offset:2048
	s_wait_loadcnt 0x1c
	ds_store_b128 v4, v[11:14] offset:4096
	;; [unrolled: 2-line block ×12, first 2 shown]
	s_wait_loadcnt 0x11
	ds_store_b128 v107, v[55:58]
	s_wait_loadcnt 0x10
	ds_store_b128 v4, v[59:62] offset:28672
	s_wait_loadcnt 0xf
	ds_store_b128 v4, v[63:66] offset:32768
	;; [unrolled: 2-line block ×7, first 2 shown]
	s_wait_loadcnt 0x9
	ds_store_b128 v108, v[87:90]
	s_wait_loadcnt 0x8
	ds_store_b128 v112, v[91:94]
	s_wait_loadcnt 0x7
	ds_store_b128 v4, v[95:98] offset:45056
	s_wait_loadcnt 0x6
	ds_store_b128 v4, v[99:102] offset:49152
	;; [unrolled: 2-line block ×6, first 2 shown]
	s_wait_loadcnt 0x1
	ds_store_b128 v4, v[128:131]
	s_wait_loadcnt 0x0
	ds_store_b128 v4, v[132:135] offset:59392
	s_and_saveexec_b32 s4, s0
	s_cbranch_execz .LBB0_14
; %bb.13:
	global_load_b128 v[7:10], v[2:3], off offset:61440
	v_mov_b32_e32 v5, 0x7f
	v_dual_mov_b32 v6, 0 :: v_dual_mov_b32 v111, 0x7f
	s_wait_loadcnt 0x0
	ds_store_b128 v1, v[7:10] offset:61440
.LBB0_14:
	s_wait_alu 0xfffe
	s_or_b32 exec_lo, exec_lo, s4
	v_mov_b32_e32 v113, v111
.LBB0_15:
	s_or_b32 exec_lo, exec_lo, s1
	v_lshlrev_b32_e32 v1, 4, v111
	global_wb scope:SCOPE_SE
	s_wait_dscnt 0x0
	s_wait_kmcnt 0x0
	s_barrier_signal -1
	s_barrier_wait -1
	global_inv scope:SCOPE_SE
	v_add_nc_u32_e32 v120, 0, v1
	v_sub_nc_u32_e32 v11, 0, v1
	v_lshlrev_b64_e32 v[20:21], 4, v[5:6]
	s_mov_b32 s1, exec_lo
	ds_load_b64 v[7:8], v120
	ds_load_b64 v[9:10], v11 offset:61440
	s_wait_dscnt 0x0
	v_add_f64_e32 v[1:2], v[7:8], v[9:10]
	v_add_f64_e64 v[3:4], v[7:8], -v[9:10]
	v_cmpx_ne_u32_e32 0, v111
	s_wait_alu 0xfffe
	s_xor_b32 s1, exec_lo, s1
	s_cbranch_execz .LBB0_17
; %bb.16:
	v_add_co_u32 v1, s0, s8, v20
	s_wait_alu 0xf1ff
	v_add_co_ci_u32_e64 v2, s0, s9, v21, s0
	v_add_f64_e32 v[14:15], v[7:8], v[9:10]
	v_add_f64_e64 v[9:10], v[7:8], -v[9:10]
	global_load_b128 v[3:6], v[1:2], off offset:61280
	ds_load_b64 v[1:2], v11 offset:61448
	ds_load_b64 v[12:13], v120 offset:8
	s_wait_dscnt 0x0
	v_add_f64_e32 v[7:8], v[1:2], v[12:13]
	v_add_f64_e64 v[1:2], v[12:13], -v[1:2]
	s_wait_loadcnt 0x0
	v_fma_f64 v[12:13], v[9:10], v[5:6], v[14:15]
	v_fma_f64 v[14:15], -v[9:10], v[5:6], v[14:15]
	s_delay_alu instid0(VALU_DEP_3) | instskip(SKIP_1) | instid1(VALU_DEP_4)
	v_fma_f64 v[16:17], v[7:8], v[5:6], -v[1:2]
	v_fma_f64 v[18:19], v[7:8], v[5:6], v[1:2]
	v_fma_f64 v[1:2], -v[7:8], v[3:4], v[12:13]
	s_delay_alu instid0(VALU_DEP_4) | instskip(NEXT) | instid1(VALU_DEP_4)
	v_fma_f64 v[5:6], v[7:8], v[3:4], v[14:15]
	v_fma_f64 v[7:8], v[9:10], v[3:4], v[16:17]
	s_delay_alu instid0(VALU_DEP_4)
	v_fma_f64 v[3:4], v[9:10], v[3:4], v[18:19]
	ds_store_b128 v11, v[5:8] offset:61440
.LBB0_17:
	s_wait_alu 0xfffe
	s_or_saveexec_b32 s0, s1
	scratch_store_b64 off, v[20:21], off offset:4 ; 8-byte Folded Spill
	s_wait_alu 0xfffe
	s_xor_b32 exec_lo, exec_lo, s0
	s_cbranch_execz .LBB0_19
; %bb.18:
	v_mov_b32_e32 v9, 0
	ds_load_b128 v[5:8], v9 offset:30720
	s_wait_dscnt 0x0
	v_add_f64_e32 v[5:6], v[5:6], v[5:6]
	v_mul_f64_e32 v[7:8], -2.0, v[7:8]
	ds_store_b128 v9, v[5:8] offset:30720
.LBB0_19:
	s_or_b32 exec_lo, exec_lo, s0
	v_mov_b32_e32 v112, 0
	s_add_nc_u64 s[0:1], s[8:9], 0xef60
	s_mov_b32 s12, 0x134454ff
	s_mov_b32 s13, 0xbfee6f0e
	;; [unrolled: 1-line block ×3, first 2 shown]
	v_lshlrev_b64_e32 v[5:6], 4, v[111:112]
	s_mov_b32 s14, s12
	s_mov_b32 s5, 0x3fe2cf23
	;; [unrolled: 1-line block ×5, first 2 shown]
	s_wait_alu 0xfffe
	v_add_co_u32 v5, s0, s0, v5
	s_wait_alu 0xf1ff
	v_add_co_ci_u32_e64 v6, s0, s1, v6, s0
	s_mov_b32 s0, 0x4755a5e
	s_mov_b32 s1, 0xbfe2cf23
	s_wait_alu 0xfffe
	s_mov_b32 s4, s0
	s_clause 0x1
	global_load_b128 v[7:10], v[5:6], off offset:2048
	global_load_b128 v[12:15], v[5:6], off offset:4096
	ds_store_b128 v120, v[1:4]
	ds_load_b128 v[1:4], v120 offset:2048
	ds_load_b128 v[16:19], v11 offset:59392
	s_mov_b32 s21, 0x3fe9e377
	s_mov_b32 s17, 0xbfd3c6ef
	;; [unrolled: 1-line block ×5, first 2 shown]
	s_wait_dscnt 0x0
	v_add_f64_e32 v[20:21], v[1:2], v[16:17]
	v_add_f64_e32 v[22:23], v[18:19], v[3:4]
	v_add_f64_e64 v[24:25], v[1:2], -v[16:17]
	v_add_f64_e64 v[16:17], v[3:4], -v[18:19]
	global_load_b128 v[1:4], v[5:6], off offset:6144
	s_wait_loadcnt 0x2
	v_fma_f64 v[18:19], v[24:25], v[9:10], v[20:21]
	v_fma_f64 v[26:27], v[22:23], v[9:10], v[16:17]
	v_fma_f64 v[20:21], -v[24:25], v[9:10], v[20:21]
	v_fma_f64 v[9:10], v[22:23], v[9:10], -v[16:17]
	s_delay_alu instid0(VALU_DEP_4) | instskip(NEXT) | instid1(VALU_DEP_4)
	v_fma_f64 v[16:17], -v[22:23], v[7:8], v[18:19]
	v_fma_f64 v[18:19], v[24:25], v[7:8], v[26:27]
	s_delay_alu instid0(VALU_DEP_4) | instskip(NEXT) | instid1(VALU_DEP_4)
	v_fma_f64 v[20:21], v[22:23], v[7:8], v[20:21]
	v_fma_f64 v[22:23], v[24:25], v[7:8], v[9:10]
	ds_store_b128 v120, v[16:19] offset:2048
	ds_store_b128 v11, v[20:23] offset:59392
	ds_load_b128 v[7:10], v120 offset:4096
	ds_load_b128 v[16:19], v11 offset:57344
	global_load_b128 v[20:23], v[5:6], off offset:8192
	s_wait_dscnt 0x0
	v_add_f64_e32 v[24:25], v[7:8], v[16:17]
	v_add_f64_e32 v[26:27], v[18:19], v[9:10]
	v_add_f64_e64 v[16:17], v[7:8], -v[16:17]
	v_add_f64_e64 v[7:8], v[9:10], -v[18:19]
	s_wait_loadcnt 0x2
	s_delay_alu instid0(VALU_DEP_2) | instskip(NEXT) | instid1(VALU_DEP_2)
	v_fma_f64 v[9:10], v[16:17], v[14:15], v[24:25]
	v_fma_f64 v[18:19], v[26:27], v[14:15], v[7:8]
	v_fma_f64 v[24:25], -v[16:17], v[14:15], v[24:25]
	v_fma_f64 v[28:29], v[26:27], v[14:15], -v[7:8]
	s_delay_alu instid0(VALU_DEP_4) | instskip(NEXT) | instid1(VALU_DEP_4)
	v_fma_f64 v[7:8], -v[26:27], v[12:13], v[9:10]
	v_fma_f64 v[9:10], v[16:17], v[12:13], v[18:19]
	s_delay_alu instid0(VALU_DEP_4) | instskip(NEXT) | instid1(VALU_DEP_4)
	v_fma_f64 v[14:15], v[26:27], v[12:13], v[24:25]
	v_fma_f64 v[16:17], v[16:17], v[12:13], v[28:29]
	ds_store_b128 v120, v[7:10] offset:4096
	ds_store_b128 v11, v[14:17] offset:57344
	ds_load_b128 v[7:10], v120 offset:6144
	ds_load_b128 v[12:15], v11 offset:55296
	s_wait_dscnt 0x0
	v_add_f64_e32 v[16:17], v[7:8], v[12:13]
	v_add_f64_e32 v[18:19], v[14:15], v[9:10]
	v_add_f64_e64 v[24:25], v[7:8], -v[12:13]
	v_add_f64_e64 v[12:13], v[9:10], -v[14:15]
	global_load_b128 v[7:10], v[5:6], off offset:10240
	s_wait_loadcnt 0x2
	v_fma_f64 v[14:15], v[24:25], v[3:4], v[16:17]
	v_fma_f64 v[26:27], v[18:19], v[3:4], v[12:13]
	v_fma_f64 v[16:17], -v[24:25], v[3:4], v[16:17]
	v_fma_f64 v[3:4], v[18:19], v[3:4], -v[12:13]
	s_delay_alu instid0(VALU_DEP_4) | instskip(NEXT) | instid1(VALU_DEP_4)
	v_fma_f64 v[12:13], -v[18:19], v[1:2], v[14:15]
	v_fma_f64 v[14:15], v[24:25], v[1:2], v[26:27]
	s_delay_alu instid0(VALU_DEP_4) | instskip(NEXT) | instid1(VALU_DEP_4)
	v_fma_f64 v[16:17], v[18:19], v[1:2], v[16:17]
	v_fma_f64 v[18:19], v[24:25], v[1:2], v[3:4]
	ds_store_b128 v120, v[12:15] offset:6144
	ds_store_b128 v11, v[16:19] offset:55296
	ds_load_b128 v[1:4], v120 offset:8192
	ds_load_b128 v[12:15], v11 offset:53248
	global_load_b128 v[16:19], v[5:6], off offset:12288
	s_wait_dscnt 0x0
	v_add_f64_e32 v[24:25], v[1:2], v[12:13]
	v_add_f64_e32 v[26:27], v[14:15], v[3:4]
	v_add_f64_e64 v[28:29], v[1:2], -v[12:13]
	v_add_f64_e64 v[1:2], v[3:4], -v[14:15]
	s_wait_loadcnt 0x2
	s_delay_alu instid0(VALU_DEP_2) | instskip(NEXT) | instid1(VALU_DEP_2)
	v_fma_f64 v[3:4], v[28:29], v[22:23], v[24:25]
	v_fma_f64 v[12:13], v[26:27], v[22:23], v[1:2]
	v_fma_f64 v[14:15], -v[28:29], v[22:23], v[24:25]
	v_fma_f64 v[22:23], v[26:27], v[22:23], -v[1:2]
	s_delay_alu instid0(VALU_DEP_4) | instskip(NEXT) | instid1(VALU_DEP_4)
	v_fma_f64 v[1:2], -v[26:27], v[20:21], v[3:4]
	v_fma_f64 v[3:4], v[28:29], v[20:21], v[12:13]
	s_delay_alu instid0(VALU_DEP_4) | instskip(NEXT) | instid1(VALU_DEP_4)
	v_fma_f64 v[12:13], v[26:27], v[20:21], v[14:15]
	v_fma_f64 v[14:15], v[28:29], v[20:21], v[22:23]
	v_or_b32_e32 v20, 0x380, v0
	ds_store_b128 v120, v[1:4] offset:8192
	ds_store_b128 v11, v[12:15] offset:53248
	ds_load_b128 v[1:4], v120 offset:10240
	ds_load_b128 v[12:15], v11 offset:51200
	v_lshlrev_b32_e32 v30, 4, v20
	global_load_b128 v[20:23], v30, s[8:9] offset:61280
	scratch_store_b32 off, v30, off         ; 4-byte Folded Spill
	v_add_nc_u32_e32 v123, 0, v30
	s_wait_dscnt 0x0
	v_add_f64_e32 v[24:25], v[1:2], v[12:13]
	v_add_f64_e32 v[26:27], v[14:15], v[3:4]
	v_add_f64_e64 v[28:29], v[1:2], -v[12:13]
	v_add_f64_e64 v[1:2], v[3:4], -v[14:15]
	s_wait_loadcnt 0x2
	s_delay_alu instid0(VALU_DEP_2) | instskip(NEXT) | instid1(VALU_DEP_2)
	v_fma_f64 v[3:4], v[28:29], v[9:10], v[24:25]
	v_fma_f64 v[12:13], v[26:27], v[9:10], v[1:2]
	v_fma_f64 v[14:15], -v[28:29], v[9:10], v[24:25]
	v_fma_f64 v[9:10], v[26:27], v[9:10], -v[1:2]
	s_delay_alu instid0(VALU_DEP_4) | instskip(NEXT) | instid1(VALU_DEP_4)
	v_fma_f64 v[1:2], -v[26:27], v[7:8], v[3:4]
	v_fma_f64 v[3:4], v[28:29], v[7:8], v[12:13]
	s_delay_alu instid0(VALU_DEP_4) | instskip(NEXT) | instid1(VALU_DEP_4)
	v_fma_f64 v[12:13], v[26:27], v[7:8], v[14:15]
	v_fma_f64 v[14:15], v[28:29], v[7:8], v[9:10]
	ds_store_b128 v120, v[1:4] offset:10240
	ds_store_b128 v11, v[12:15] offset:51200
	ds_load_b128 v[1:4], v120 offset:12288
	ds_load_b128 v[7:10], v11 offset:49152
	global_load_b128 v[12:15], v[5:6], off offset:16384
	s_wait_dscnt 0x0
	v_add_f64_e32 v[24:25], v[1:2], v[7:8]
	v_add_f64_e32 v[26:27], v[9:10], v[3:4]
	v_add_f64_e64 v[28:29], v[1:2], -v[7:8]
	v_add_f64_e64 v[1:2], v[3:4], -v[9:10]
	s_wait_loadcnt 0x2
	s_delay_alu instid0(VALU_DEP_2) | instskip(NEXT) | instid1(VALU_DEP_2)
	v_fma_f64 v[3:4], v[28:29], v[18:19], v[24:25]
	v_fma_f64 v[7:8], v[26:27], v[18:19], v[1:2]
	v_fma_f64 v[9:10], -v[28:29], v[18:19], v[24:25]
	v_fma_f64 v[18:19], v[26:27], v[18:19], -v[1:2]
	s_delay_alu instid0(VALU_DEP_4) | instskip(NEXT) | instid1(VALU_DEP_4)
	v_fma_f64 v[1:2], -v[26:27], v[16:17], v[3:4]
	v_fma_f64 v[3:4], v[28:29], v[16:17], v[7:8]
	s_delay_alu instid0(VALU_DEP_4) | instskip(NEXT) | instid1(VALU_DEP_4)
	v_fma_f64 v[7:8], v[26:27], v[16:17], v[9:10]
	v_fma_f64 v[9:10], v[28:29], v[16:17], v[18:19]
	ds_store_b128 v120, v[1:4] offset:12288
	ds_store_b128 v11, v[7:10] offset:49152
	ds_load_b128 v[1:4], v123
	ds_load_b128 v[7:10], v11 offset:47104
	s_wait_dscnt 0x0
	v_add_f64_e32 v[16:17], v[1:2], v[7:8]
	v_add_f64_e32 v[24:25], v[9:10], v[3:4]
	v_add_f64_e64 v[26:27], v[1:2], -v[7:8]
	v_add_f64_e64 v[7:8], v[3:4], -v[9:10]
	global_load_b128 v[1:4], v[5:6], off offset:28672
	s_wait_loadcnt 0x2
	v_fma_f64 v[9:10], v[26:27], v[22:23], v[16:17]
	v_fma_f64 v[18:19], v[24:25], v[22:23], v[7:8]
	v_fma_f64 v[28:29], -v[26:27], v[22:23], v[16:17]
	v_fma_f64 v[30:31], v[24:25], v[22:23], -v[7:8]
	s_delay_alu instid0(VALU_DEP_4) | instskip(NEXT) | instid1(VALU_DEP_4)
	v_fma_f64 v[7:8], -v[24:25], v[20:21], v[9:10]
	v_fma_f64 v[9:10], v[26:27], v[20:21], v[18:19]
	global_load_b128 v[16:19], v[5:6], off offset:18432
	v_fma_f64 v[22:23], v[24:25], v[20:21], v[28:29]
	v_fma_f64 v[24:25], v[26:27], v[20:21], v[30:31]
	ds_store_b128 v123, v[7:10]
	ds_store_b128 v11, v[22:25] offset:47104
	ds_load_b128 v[7:10], v120 offset:16384
	ds_load_b128 v[20:23], v11 offset:45056
	s_wait_dscnt 0x0
	v_add_f64_e32 v[24:25], v[7:8], v[20:21]
	v_add_f64_e32 v[26:27], v[22:23], v[9:10]
	v_add_f64_e64 v[28:29], v[7:8], -v[20:21]
	v_add_f64_e64 v[30:31], v[9:10], -v[22:23]
	global_load_b128 v[20:23], v[5:6], off offset:20480
	s_wait_loadcnt 0x3
	v_fma_f64 v[7:8], v[28:29], v[14:15], v[24:25]
	v_fma_f64 v[9:10], v[26:27], v[14:15], v[30:31]
	v_fma_f64 v[24:25], -v[28:29], v[14:15], v[24:25]
	v_fma_f64 v[14:15], v[26:27], v[14:15], -v[30:31]
	s_delay_alu instid0(VALU_DEP_4) | instskip(NEXT) | instid1(VALU_DEP_4)
	v_fma_f64 v[7:8], -v[26:27], v[12:13], v[7:8]
	v_fma_f64 v[9:10], v[28:29], v[12:13], v[9:10]
	s_delay_alu instid0(VALU_DEP_4) | instskip(NEXT) | instid1(VALU_DEP_4)
	v_fma_f64 v[24:25], v[26:27], v[12:13], v[24:25]
	v_fma_f64 v[26:27], v[28:29], v[12:13], v[14:15]
	ds_store_b128 v120, v[7:10] offset:16384
	ds_store_b128 v11, v[24:27] offset:45056
	ds_load_b128 v[7:10], v120 offset:18432
	ds_load_b128 v[12:15], v11 offset:43008
	s_wait_dscnt 0x0
	v_add_f64_e32 v[24:25], v[7:8], v[12:13]
	v_add_f64_e32 v[26:27], v[14:15], v[9:10]
	v_add_f64_e64 v[28:29], v[7:8], -v[12:13]
	v_add_f64_e64 v[7:8], v[9:10], -v[14:15]
	s_wait_loadcnt 0x1
	s_delay_alu instid0(VALU_DEP_2) | instskip(NEXT) | instid1(VALU_DEP_2)
	v_fma_f64 v[9:10], v[28:29], v[18:19], v[24:25]
	v_fma_f64 v[12:13], v[26:27], v[18:19], v[7:8]
	v_fma_f64 v[24:25], -v[28:29], v[18:19], v[24:25]
	v_fma_f64 v[18:19], v[26:27], v[18:19], -v[7:8]
	s_delay_alu instid0(VALU_DEP_4) | instskip(NEXT) | instid1(VALU_DEP_4)
	v_fma_f64 v[7:8], -v[26:27], v[16:17], v[9:10]
	v_fma_f64 v[9:10], v[28:29], v[16:17], v[12:13]
	global_load_b128 v[12:15], v[5:6], off offset:22528
	v_fma_f64 v[24:25], v[26:27], v[16:17], v[24:25]
	v_fma_f64 v[26:27], v[28:29], v[16:17], v[18:19]
	ds_store_b128 v120, v[7:10] offset:18432
	ds_store_b128 v11, v[24:27] offset:43008
	ds_load_b128 v[7:10], v120 offset:20480
	ds_load_b128 v[16:19], v11 offset:40960
	s_wait_dscnt 0x0
	v_add_f64_e32 v[24:25], v[7:8], v[16:17]
	v_add_f64_e32 v[26:27], v[18:19], v[9:10]
	v_add_f64_e64 v[28:29], v[7:8], -v[16:17]
	v_add_f64_e64 v[30:31], v[9:10], -v[18:19]
	global_load_b128 v[16:19], v[5:6], off offset:24576
	s_wait_loadcnt 0x2
	v_fma_f64 v[7:8], v[28:29], v[22:23], v[24:25]
	v_fma_f64 v[9:10], v[26:27], v[22:23], v[30:31]
	v_fma_f64 v[24:25], -v[28:29], v[22:23], v[24:25]
	v_fma_f64 v[30:31], v[26:27], v[22:23], -v[30:31]
	s_delay_alu instid0(VALU_DEP_4) | instskip(NEXT) | instid1(VALU_DEP_4)
	v_fma_f64 v[7:8], -v[26:27], v[20:21], v[7:8]
	v_fma_f64 v[9:10], v[28:29], v[20:21], v[9:10]
	s_delay_alu instid0(VALU_DEP_4) | instskip(NEXT) | instid1(VALU_DEP_4)
	v_fma_f64 v[22:23], v[26:27], v[20:21], v[24:25]
	v_fma_f64 v[24:25], v[28:29], v[20:21], v[30:31]
	ds_store_b128 v120, v[7:10] offset:20480
	ds_store_b128 v11, v[22:25] offset:40960
	ds_load_b128 v[7:10], v120 offset:22528
	ds_load_b128 v[20:23], v11 offset:38912
	global_load_b128 v[24:27], v[5:6], off offset:26624
	s_wait_dscnt 0x0
	v_add_f64_e32 v[5:6], v[7:8], v[20:21]
	v_add_f64_e32 v[28:29], v[22:23], v[9:10]
	v_add_f64_e64 v[30:31], v[7:8], -v[20:21]
	v_add_f64_e64 v[7:8], v[9:10], -v[22:23]
	s_wait_loadcnt 0x2
	s_delay_alu instid0(VALU_DEP_2) | instskip(NEXT) | instid1(VALU_DEP_2)
	v_fma_f64 v[9:10], v[30:31], v[14:15], v[5:6]
	v_fma_f64 v[20:21], v[28:29], v[14:15], v[7:8]
	v_fma_f64 v[22:23], -v[30:31], v[14:15], v[5:6]
	v_fma_f64 v[14:15], v[28:29], v[14:15], -v[7:8]
	s_delay_alu instid0(VALU_DEP_4) | instskip(NEXT) | instid1(VALU_DEP_4)
	v_fma_f64 v[5:6], -v[28:29], v[12:13], v[9:10]
	v_fma_f64 v[7:8], v[30:31], v[12:13], v[20:21]
	s_delay_alu instid0(VALU_DEP_4) | instskip(NEXT) | instid1(VALU_DEP_4)
	v_fma_f64 v[20:21], v[28:29], v[12:13], v[22:23]
	v_fma_f64 v[22:23], v[30:31], v[12:13], v[14:15]
	ds_store_b128 v120, v[5:8] offset:22528
	ds_store_b128 v11, v[20:23] offset:38912
	ds_load_b128 v[5:8], v120 offset:24576
	ds_load_b128 v[12:15], v11 offset:36864
	s_wait_dscnt 0x0
	v_add_f64_e32 v[9:10], v[5:6], v[12:13]
	v_add_f64_e32 v[20:21], v[14:15], v[7:8]
	v_add_f64_e64 v[22:23], v[5:6], -v[12:13]
	v_add_f64_e64 v[5:6], v[7:8], -v[14:15]
	s_wait_loadcnt 0x1
	s_delay_alu instid0(VALU_DEP_2) | instskip(NEXT) | instid1(VALU_DEP_2)
	v_fma_f64 v[7:8], v[22:23], v[18:19], v[9:10]
	v_fma_f64 v[12:13], v[20:21], v[18:19], v[5:6]
	v_fma_f64 v[9:10], -v[22:23], v[18:19], v[9:10]
	v_fma_f64 v[14:15], v[20:21], v[18:19], -v[5:6]
	s_delay_alu instid0(VALU_DEP_4) | instskip(NEXT) | instid1(VALU_DEP_4)
	v_fma_f64 v[5:6], -v[20:21], v[16:17], v[7:8]
	v_fma_f64 v[7:8], v[22:23], v[16:17], v[12:13]
	s_delay_alu instid0(VALU_DEP_4) | instskip(NEXT) | instid1(VALU_DEP_4)
	v_fma_f64 v[12:13], v[20:21], v[16:17], v[9:10]
	v_fma_f64 v[14:15], v[22:23], v[16:17], v[14:15]
	ds_store_b128 v120, v[5:8] offset:24576
	ds_store_b128 v11, v[12:15] offset:36864
	ds_load_b128 v[5:8], v120 offset:26624
	ds_load_b128 v[12:15], v11 offset:34816
	;; [unrolled: 21-line block ×3, first 2 shown]
	s_wait_dscnt 0x0
	v_add_f64_e32 v[9:10], v[5:6], v[12:13]
	v_add_f64_e32 v[16:17], v[14:15], v[7:8]
	v_add_f64_e64 v[12:13], v[5:6], -v[12:13]
	v_add_f64_e64 v[5:6], v[7:8], -v[14:15]
	s_delay_alu instid0(VALU_DEP_2) | instskip(NEXT) | instid1(VALU_DEP_2)
	v_fma_f64 v[7:8], v[12:13], v[3:4], v[9:10]
	v_fma_f64 v[14:15], v[16:17], v[3:4], v[5:6]
	v_fma_f64 v[9:10], -v[12:13], v[3:4], v[9:10]
	v_fma_f64 v[18:19], v[16:17], v[3:4], -v[5:6]
	s_delay_alu instid0(VALU_DEP_4) | instskip(NEXT) | instid1(VALU_DEP_4)
	v_fma_f64 v[3:4], -v[16:17], v[1:2], v[7:8]
	v_fma_f64 v[5:6], v[12:13], v[1:2], v[14:15]
	s_delay_alu instid0(VALU_DEP_4) | instskip(NEXT) | instid1(VALU_DEP_4)
	v_fma_f64 v[7:8], v[16:17], v[1:2], v[9:10]
	v_fma_f64 v[9:10], v[12:13], v[1:2], v[18:19]
	ds_store_b128 v120, v[3:6] offset:28672
	ds_store_b128 v11, v[7:10] offset:32768
	global_wb scope:SCOPE_SE
	s_wait_storecnt_dscnt 0x0
	s_barrier_signal -1
	s_barrier_wait -1
	global_inv scope:SCOPE_SE
	global_wb scope:SCOPE_SE
	s_barrier_signal -1
	s_barrier_wait -1
	global_inv scope:SCOPE_SE
	ds_load_b128 v[9:12], v120 offset:12288
	ds_load_b128 v[1:4], v120
	ds_load_b128 v[5:8], v120 offset:2048
	ds_load_b128 v[13:16], v120 offset:14336
	;; [unrolled: 1-line block ×6, first 2 shown]
	s_wait_dscnt 0x6
	v_add_f64_e32 v[21:22], v[1:2], v[9:10]
	v_add_f64_e32 v[23:24], v[3:4], v[11:12]
	s_wait_dscnt 0x2
	v_add_f64_e32 v[93:94], v[17:18], v[33:34]
	v_add_f64_e64 v[121:122], v[9:10], -v[17:18]
	v_add_f64_e64 v[47:48], v[17:18], -v[33:34]
	;; [unrolled: 1-line block ×3, first 2 shown]
	v_add_f64_e32 v[95:96], v[19:20], v[35:36]
	v_add_f64_e64 v[116:117], v[11:12], -v[19:20]
	s_wait_dscnt 0x0
	v_add_f64_e32 v[156:157], v[37:38], v[41:42]
	v_add_f64_e64 v[158:159], v[39:40], -v[43:44]
	v_add_f64_e64 v[160:161], v[13:14], -v[37:38]
	v_add_f64_e64 v[162:163], v[37:38], -v[13:14]
	v_add_f64_e32 v[164:165], v[39:40], v[43:44]
	v_add_f64_e64 v[166:167], v[37:38], -v[41:42]
	v_add_f64_e64 v[168:169], v[15:16], -v[39:40]
	;; [unrolled: 1-line block ×3, first 2 shown]
	v_add_f64_e32 v[25:26], v[21:22], v[17:18]
	v_add_f64_e64 v[21:22], v[17:18], -v[9:10]
	v_add_f64_e64 v[17:18], v[19:20], -v[11:12]
	v_add_f64_e32 v[27:28], v[23:24], v[19:20]
	v_fma_f64 v[164:165], v[164:165], -0.5, v[7:8]
	s_clause 0x1
	scratch_store_b64 off, v[21:22], off offset:12
	scratch_store_b64 off, v[17:18], off offset:20
	ds_load_b128 v[17:20], v120 offset:49152
	ds_load_b128 v[53:56], v120 offset:51200
	s_wait_dscnt 0x1
	v_add_f64_e64 v[49:50], v[11:12], -v[19:20]
	v_add_f64_e32 v[97:98], v[9:10], v[17:18]
	v_add_f64_e64 v[51:52], v[9:10], -v[17:18]
	v_add_f64_e32 v[99:100], v[11:12], v[19:20]
	v_add_f64_e32 v[9:10], v[25:26], v[33:34]
	;; [unrolled: 1-line block ×3, first 2 shown]
	v_add_f64_e64 v[31:32], v[17:18], -v[33:34]
	v_add_f64_e64 v[33:34], v[33:34], -v[17:18]
	;; [unrolled: 1-line block ×4, first 2 shown]
	s_wait_dscnt 0x0
	v_add_f64_e64 v[172:173], v[15:16], -v[55:56]
	v_add_f64_e32 v[174:175], v[13:14], v[53:54]
	v_add_f64_e64 v[176:177], v[13:14], -v[53:54]
	v_add_f64_e32 v[178:179], v[15:16], v[55:56]
	v_add_f64_e64 v[180:181], v[53:54], -v[41:42]
	v_add_f64_e64 v[182:183], v[41:42], -v[53:54]
	v_add_f64_e64 v[184:185], v[55:56], -v[43:44]
	v_add_f64_e64 v[186:187], v[43:44], -v[55:56]
	v_add_f64_e32 v[101:102], v[9:10], v[17:18]
	v_add_f64_e32 v[103:104], v[11:12], v[19:20]
	ds_load_b128 v[9:12], v120 offset:18432
	ds_load_b128 v[17:20], v120 offset:6144
	;; [unrolled: 1-line block ×6, first 2 shown]
	s_wait_dscnt 0x4
	v_add_f64_e32 v[73:74], v[17:18], v[9:10]
	s_wait_dscnt 0x1
	v_add_f64_e64 v[128:129], v[9:10], -v[65:66]
	v_add_f64_e64 v[130:131], v[65:66], -v[9:10]
	;; [unrolled: 1-line block ×4, first 2 shown]
	s_wait_dscnt 0x0
	v_add_f64_e64 v[224:225], v[61:62], -v[69:70]
	v_add_f64_e64 v[226:227], v[69:70], -v[61:62]
	;; [unrolled: 1-line block ×4, first 2 shown]
	v_add_f64_e32 v[85:86], v[73:74], v[65:66]
	v_add_f64_e32 v[73:74], v[19:20], v[11:12]
	s_delay_alu instid0(VALU_DEP_1)
	v_add_f64_e32 v[87:88], v[73:74], v[67:68]
	ds_load_b128 v[73:76], v120 offset:43008
	ds_load_b128 v[77:80], v120 offset:40960
	s_wait_dscnt 0x1
	v_add_f64_e32 v[105:106], v[65:66], v[73:74]
	v_add_f64_e64 v[107:108], v[67:68], -v[75:76]
	v_add_f64_e32 v[124:125], v[67:68], v[75:76]
	v_add_f64_e64 v[132:133], v[65:66], -v[73:74]
	ds_load_b128 v[65:68], v120 offset:55296
	ds_load_b128 v[81:84], v120 offset:53248
	s_wait_dscnt 0x2
	v_add_f64_e32 v[220:221], v[69:70], v[77:78]
	v_add_f64_e64 v[222:223], v[71:72], -v[79:80]
	v_add_f64_e32 v[228:229], v[71:72], v[79:80]
	v_add_f64_e64 v[230:231], v[69:70], -v[77:78]
	s_wait_dscnt 0x1
	v_add_f64_e64 v[138:139], v[11:12], -v[67:68]
	v_add_f64_e32 v[126:127], v[9:10], v[65:66]
	v_add_f64_e64 v[140:141], v[9:10], -v[65:66]
	v_add_f64_e32 v[142:143], v[11:12], v[67:68]
	v_add_f64_e32 v[9:10], v[85:86], v[73:74]
	;; [unrolled: 1-line block ×3, first 2 shown]
	v_add_f64_e64 v[144:145], v[65:66], -v[73:74]
	v_add_f64_e64 v[146:147], v[73:74], -v[65:66]
	;; [unrolled: 1-line block ×4, first 2 shown]
	s_wait_dscnt 0x0
	v_add_f64_e64 v[236:237], v[63:64], -v[83:84]
	v_add_f64_e64 v[238:239], v[61:62], -v[81:82]
	;; [unrolled: 1-line block ×5, first 2 shown]
	v_fma_f64 v[220:221], v[220:221], -0.5, v[57:58]
	v_add_f64_e32 v[152:153], v[9:10], v[65:66]
	v_add_f64_e32 v[154:155], v[11:12], v[67:68]
	;; [unrolled: 1-line block ×4, first 2 shown]
	s_delay_alu instid0(VALU_DEP_2) | instskip(NEXT) | instid1(VALU_DEP_2)
	v_add_f64_e32 v[9:10], v[9:10], v[37:38]
	v_add_f64_e32 v[11:12], v[11:12], v[39:40]
	s_delay_alu instid0(VALU_DEP_2) | instskip(NEXT) | instid1(VALU_DEP_2)
	v_add_f64_e32 v[9:10], v[9:10], v[41:42]
	v_add_f64_e32 v[11:12], v[11:12], v[43:44]
	s_delay_alu instid0(VALU_DEP_2) | instskip(NEXT) | instid1(VALU_DEP_2)
	v_add_f64_e32 v[188:189], v[9:10], v[53:54]
	v_add_f64_e32 v[190:191], v[11:12], v[55:56]
	ds_load_b128 v[9:12], v120 offset:20480
	ds_load_b128 v[13:16], v120 offset:8192
	;; [unrolled: 1-line block ×6, first 2 shown]
	s_wait_dscnt 0x4
	v_add_f64_e32 v[73:74], v[13:14], v[9:10]
	s_wait_dscnt 0x1
	v_add_f64_e64 v[200:201], v[9:10], -v[53:54]
	v_add_f64_e64 v[202:203], v[53:54], -v[9:10]
	;; [unrolled: 1-line block ×4, first 2 shown]
	s_wait_dscnt 0x0
	v_add_f64_e64 v[254:255], v[43:44], -v[67:68]
	v_add_f64_e64 v[118:119], v[67:68], -v[43:44]
	;; [unrolled: 1-line block ×4, first 2 shown]
	v_add_f64_e32 v[192:193], v[73:74], v[53:54]
	v_add_f64_e32 v[73:74], v[15:16], v[11:12]
	s_delay_alu instid0(VALU_DEP_1)
	v_add_f64_e32 v[194:195], v[73:74], v[55:56]
	ds_load_b128 v[73:76], v120 offset:45056
	ds_load_b128 v[85:88], v120 offset:47104
	s_wait_dscnt 0x1
	v_add_f64_e32 v[196:197], v[53:54], v[73:74]
	v_add_f64_e64 v[198:199], v[55:56], -v[75:76]
	v_add_f64_e32 v[204:205], v[55:56], v[75:76]
	v_add_f64_e64 v[206:207], v[53:54], -v[73:74]
	ds_load_b128 v[53:56], v120 offset:57344
	ds_load_b128 v[89:92], v120 offset:59392
	s_wait_dscnt 0x2
	v_add_f64_e64 v[246:247], v[67:68], -v[87:88]
	v_add_f64_e64 v[252:253], v[65:66], -v[85:86]
	s_wait_dscnt 0x1
	v_add_f64_e64 v[212:213], v[11:12], -v[55:56]
	v_add_f64_e32 v[214:215], v[9:10], v[53:54]
	v_add_f64_e64 v[216:217], v[9:10], -v[53:54]
	v_add_f64_e32 v[9:10], v[11:12], v[55:56]
	v_add_f64_e32 v[11:12], v[192:193], v[73:74]
	v_add_f64_e32 v[192:193], v[194:195], v[75:76]
	v_add_f64_e64 v[194:195], v[53:54], -v[73:74]
	v_add_f64_e64 v[73:74], v[73:74], -v[53:54]
	;; [unrolled: 1-line block ×4, first 2 shown]
	s_wait_dscnt 0x0
	v_add_f64_e64 v[23:24], v[89:90], -v[85:86]
	v_add_f64_e64 v[27:28], v[85:86], -v[89:90]
	;; [unrolled: 1-line block ×4, first 2 shown]
	v_fma_f64 v[204:205], v[204:205], -0.5, v[15:16]
	v_add_f64_e32 v[53:54], v[11:12], v[53:54]
	v_add_f64_e32 v[11:12], v[57:58], v[61:62]
	;; [unrolled: 1-line block ×13, first 2 shown]
	s_delay_alu instid0(VALU_DEP_4) | instskip(NEXT) | instid1(VALU_DEP_3)
	v_add_f64_e32 v[11:12], v[11:12], v[77:78]
	v_add_f64_e32 v[63:64], v[192:193], v[79:80]
	v_add_f64_e64 v[192:193], v[81:82], -v[77:78]
	v_add_f64_e32 v[77:78], v[39:40], v[43:44]
	v_add_f64_e32 v[79:80], v[65:66], v[85:86]
	;; [unrolled: 1-line block ×8, first 2 shown]
	v_fma_f64 v[83:84], v[93:94], -0.5, v[1:2]
	v_fma_f64 v[93:94], v[105:106], -0.5, v[17:18]
	;; [unrolled: 1-line block ×10, first 2 shown]
	v_add_f64_e32 v[9:10], v[188:189], v[53:54]
	v_fma_f64 v[5:6], v[69:70], -0.5, v[57:58]
	v_fma_f64 v[57:58], v[79:80], -0.5, v[37:38]
	;; [unrolled: 1-line block ×3, first 2 shown]
	v_add_f64_e64 v[15:16], v[103:104], -v[154:155]
	v_add_f64_e64 v[13:14], v[101:102], -v[152:153]
	v_add_f64_e32 v[69:70], v[136:137], v[150:151]
	v_add_f64_e32 v[79:80], v[200:201], v[194:195]
	;; [unrolled: 1-line block ×4, first 2 shown]
	v_add_f64_e64 v[41:42], v[41:42], -v[89:90]
	v_add_f64_e32 v[67:68], v[77:78], v[87:88]
	v_fma_f64 v[61:62], v[81:82], -0.5, v[39:40]
	v_add_f64_e32 v[81:82], v[208:209], v[218:219]
	v_add_f64_e32 v[11:12], v[11:12], v[85:86]
	v_add_f64_e64 v[85:86], v[91:92], -v[87:88]
	v_fma_f64 v[87:88], v[97:98], -0.5, v[1:2]
	v_fma_f64 v[97:98], v[124:125], -0.5, v[19:20]
	v_add_f64_e32 v[67:68], v[67:68], v[91:92]
	v_fma_f64 v[91:92], v[99:100], -0.5, v[3:4]
	v_fma_f64 v[59:60], v[65:66], -0.5, v[37:38]
	v_add_f64_e64 v[1:2], v[188:189], -v[53:54]
	v_add_f64_e32 v[53:54], v[121:122], v[31:32]
	v_add_f64_e32 v[65:66], v[134:135], v[148:149]
	v_fma_f64 v[31:32], v[138:139], s[12:13], v[93:94]
	v_fma_f64 v[99:100], v[142:143], -0.5, v[19:20]
	v_add_f64_e32 v[124:125], v[101:102], v[152:153]
	v_add_f64_e32 v[101:102], v[226:227], v[240:241]
	;; [unrolled: 1-line block ×3, first 2 shown]
	v_fma_f64 v[89:90], v[95:96], -0.5, v[3:4]
	v_add_f64_e32 v[11:12], v[190:191], v[55:56]
	v_add_f64_e64 v[3:4], v[190:191], -v[55:56]
	v_add_f64_e32 v[55:56], v[116:117], v[29:30]
	v_fma_f64 v[29:30], v[140:141], s[14:15], v[97:98]
	v_add_f64_e32 v[190:191], v[63:64], v[67:68]
	v_add_f64_e64 v[19:20], v[63:64], -v[67:68]
	v_add_f64_e32 v[63:64], v[128:129], v[144:145]
	v_fma_f64 v[95:96], v[126:127], -0.5, v[17:18]
	v_fma_f64 v[31:32], v[107:108], s[0:1], v[31:32]
	v_add_f64_e32 v[126:127], v[103:104], v[154:155]
	v_add_f64_e32 v[67:68], v[130:131], v[146:147]
	;; [unrolled: 1-line block ×3, first 2 shown]
	v_fma_f64 v[85:86], v[41:42], s[14:15], v[61:62]
	v_add_f64_e32 v[116:117], v[232:233], v[242:243]
	v_add_f64_e32 v[103:104], v[234:235], v[244:245]
	;; [unrolled: 1-line block ×3, first 2 shown]
	v_fma_f64 v[39:40], v[51:52], s[14:15], v[89:90]
	v_add_f64_e64 v[17:18], v[71:72], -v[77:78]
	s_wait_alu 0xfffe
	v_fma_f64 v[29:30], v[132:133], s[4:5], v[29:30]
	v_fma_f64 v[31:32], v[63:64], s[10:11], v[31:32]
	;; [unrolled: 1-line block ×4, first 2 shown]
	s_delay_alu instid0(VALU_DEP_4) | instskip(NEXT) | instid1(VALU_DEP_3)
	v_fma_f64 v[29:30], v[65:66], s[10:11], v[29:30]
	v_fma_f64 v[85:86], v[121:122], s[10:11], v[85:86]
	s_delay_alu instid0(VALU_DEP_3) | instskip(NEXT) | instid1(VALU_DEP_3)
	v_fma_f64 v[39:40], v[55:56], s[10:11], v[39:40]
	v_mul_f64_e32 v[37:38], s[0:1], v[29:30]
	s_delay_alu instid0(VALU_DEP_1) | instskip(SKIP_1) | instid1(VALU_DEP_1)
	v_fma_f64 v[37:38], v[31:32], s[20:21], v[37:38]
	v_mul_f64_e32 v[31:32], s[4:5], v[31:32]
	v_fma_f64 v[29:30], v[29:30], s[20:21], v[31:32]
	v_fma_f64 v[31:32], v[49:50], s[12:13], v[83:84]
	s_delay_alu instid0(VALU_DEP_2) | instskip(SKIP_3) | instid1(VALU_DEP_1)
	v_add_f64_e32 v[154:155], v[39:40], v[29:30]
	v_add_f64_e64 v[144:145], v[39:40], -v[29:30]
	scratch_load_b64 v[29:30], off, off offset:12 th:TH_LOAD_LU ; 8-byte Folded Reload
	v_fma_f64 v[31:32], v[45:46], s[0:1], v[31:32]
	v_fma_f64 v[31:32], v[53:54], s[10:11], v[31:32]
	s_delay_alu instid0(VALU_DEP_1) | instskip(SKIP_2) | instid1(VALU_DEP_1)
	v_add_f64_e32 v[152:153], v[31:32], v[37:38]
	v_add_f64_e64 v[142:143], v[31:32], -v[37:38]
	v_fma_f64 v[31:32], v[107:108], s[14:15], v[95:96]
	v_fma_f64 v[31:32], v[138:139], s[0:1], v[31:32]
	s_delay_alu instid0(VALU_DEP_1)
	v_fma_f64 v[31:32], v[67:68], s[10:11], v[31:32]
	s_wait_loadcnt 0x0
	v_add_f64_e32 v[37:38], v[29:30], v[33:34]
	scratch_load_b64 v[29:30], off, off offset:20 th:TH_LOAD_LU ; 8-byte Folded Reload
	global_wb scope:SCOPE_SE
	s_wait_loadcnt 0x0
	s_wait_storecnt 0x0
	s_barrier_signal -1
	s_barrier_wait -1
	global_inv scope:SCOPE_SE
	v_add_f64_e32 v[39:40], v[29:30], v[35:36]
	v_fma_f64 v[29:30], v[132:133], s[12:13], v[99:100]
	s_delay_alu instid0(VALU_DEP_1) | instskip(NEXT) | instid1(VALU_DEP_1)
	v_fma_f64 v[29:30], v[140:141], s[4:5], v[29:30]
	v_fma_f64 v[29:30], v[69:70], s[10:11], v[29:30]
	s_delay_alu instid0(VALU_DEP_1) | instskip(SKIP_1) | instid1(VALU_DEP_2)
	v_mul_f64_e32 v[33:34], s[12:13], v[29:30]
	v_mul_f64_e32 v[29:30], s[10:11], v[29:30]
	v_fma_f64 v[71:72], v[31:32], s[10:11], v[33:34]
	s_delay_alu instid0(VALU_DEP_2) | instskip(SKIP_2) | instid1(VALU_DEP_2)
	v_fma_f64 v[31:32], v[31:32], s[14:15], v[29:30]
	v_fma_f64 v[29:30], v[45:46], s[14:15], v[87:88]
	;; [unrolled: 1-line block ×4, first 2 shown]
	s_delay_alu instid0(VALU_DEP_2) | instskip(NEXT) | instid1(VALU_DEP_2)
	v_fma_f64 v[33:34], v[51:52], s[4:5], v[33:34]
	v_fma_f64 v[29:30], v[37:38], s[10:11], v[29:30]
	s_delay_alu instid0(VALU_DEP_2) | instskip(NEXT) | instid1(VALU_DEP_2)
	v_fma_f64 v[77:78], v[39:40], s[10:11], v[33:34]
	v_add_f64_e32 v[33:34], v[29:30], v[71:72]
	v_add_f64_e64 v[29:30], v[29:30], -v[71:72]
	v_fma_f64 v[71:72], v[45:46], s[12:13], v[87:88]
	s_delay_alu instid0(VALU_DEP_4) | instskip(SKIP_2) | instid1(VALU_DEP_4)
	v_add_f64_e32 v[35:36], v[77:78], v[31:32]
	v_add_f64_e64 v[31:32], v[77:78], -v[31:32]
	v_add_f64_e32 v[77:78], v[168:169], v[184:185]
	v_fma_f64 v[71:72], v[49:50], s[4:5], v[71:72]
	v_fma_f64 v[49:50], v[49:50], s[14:15], v[83:84]
	s_delay_alu instid0(VALU_DEP_2) | instskip(SKIP_1) | instid1(VALU_DEP_3)
	v_fma_f64 v[37:38], v[37:38], s[10:11], v[71:72]
	v_fma_f64 v[71:72], v[47:48], s[14:15], v[91:92]
	;; [unrolled: 1-line block ×3, first 2 shown]
	s_delay_alu instid0(VALU_DEP_2) | instskip(SKIP_1) | instid1(VALU_DEP_3)
	v_fma_f64 v[71:72], v[51:52], s[0:1], v[71:72]
	v_fma_f64 v[51:52], v[51:52], s[12:13], v[89:90]
	;; [unrolled: 1-line block ×3, first 2 shown]
	s_delay_alu instid0(VALU_DEP_3) | instskip(SKIP_1) | instid1(VALU_DEP_4)
	v_fma_f64 v[39:40], v[39:40], s[10:11], v[71:72]
	v_fma_f64 v[71:72], v[132:133], s[14:15], v[99:100]
	;; [unrolled: 1-line block ×3, first 2 shown]
	s_delay_alu instid0(VALU_DEP_2) | instskip(NEXT) | instid1(VALU_DEP_2)
	v_fma_f64 v[71:72], v[140:141], s[0:1], v[71:72]
	v_fma_f64 v[47:48], v[55:56], s[10:11], v[47:48]
	s_delay_alu instid0(VALU_DEP_2) | instskip(SKIP_1) | instid1(VALU_DEP_1)
	v_fma_f64 v[69:70], v[69:70], s[10:11], v[71:72]
	v_fma_f64 v[71:72], v[107:108], s[12:13], v[95:96]
	;; [unrolled: 1-line block ×3, first 2 shown]
	s_delay_alu instid0(VALU_DEP_1) | instskip(NEXT) | instid1(VALU_DEP_4)
	v_fma_f64 v[67:68], v[67:68], s[10:11], v[71:72]
	v_mul_f64_e32 v[71:72], s[12:13], v[69:70]
	v_mul_f64_e32 v[69:70], s[16:17], v[69:70]
	s_delay_alu instid0(VALU_DEP_2) | instskip(NEXT) | instid1(VALU_DEP_2)
	v_fma_f64 v[71:72], v[67:68], s[16:17], v[71:72]
	v_fma_f64 v[67:68], v[67:68], s[14:15], v[69:70]
	;; [unrolled: 1-line block ×3, first 2 shown]
	s_delay_alu instid0(VALU_DEP_3) | instskip(NEXT) | instid1(VALU_DEP_3)
	v_add_f64_e32 v[146:147], v[37:38], v[71:72]
	v_add_f64_e32 v[148:149], v[39:40], v[67:68]
	v_add_f64_e64 v[39:40], v[39:40], -v[67:68]
	v_fma_f64 v[67:68], v[140:141], s[12:13], v[97:98]
	v_fma_f64 v[49:50], v[107:108], s[4:5], v[69:70]
	v_add_f64_e32 v[69:70], v[162:163], v[182:183]
	v_add_f64_e64 v[37:38], v[37:38], -v[71:72]
	v_add_f64_e32 v[71:72], v[170:171], v[186:187]
	v_or_b32_e32 v186, 0x380, v0
	v_subrev_nc_u32_e32 v0, 64, v0
	v_fma_f64 v[67:68], v[132:133], s[0:1], v[67:68]
	v_fma_f64 v[49:50], v[63:64], s[10:11], v[49:50]
	v_add_f64_e32 v[63:64], v[160:161], v[180:181]
	s_delay_alu instid0(VALU_DEP_3) | instskip(SKIP_1) | instid1(VALU_DEP_2)
	v_fma_f64 v[51:52], v[65:66], s[10:11], v[67:68]
	v_fma_f64 v[67:68], v[176:177], s[14:15], v[164:165]
	v_mul_f64_e32 v[53:54], s[0:1], v[51:52]
	v_mul_f64_e32 v[51:52], s[18:19], v[51:52]
	s_delay_alu instid0(VALU_DEP_3) | instskip(NEXT) | instid1(VALU_DEP_3)
	v_fma_f64 v[67:68], v[166:167], s[4:5], v[67:68]
	v_fma_f64 v[53:54], v[49:50], s[18:19], v[53:54]
	s_delay_alu instid0(VALU_DEP_3) | instskip(NEXT) | instid1(VALU_DEP_3)
	v_fma_f64 v[55:56], v[49:50], s[4:5], v[51:52]
	v_fma_f64 v[67:68], v[77:78], s[10:11], v[67:68]
	s_delay_alu instid0(VALU_DEP_3)
	v_add_f64_e32 v[49:50], v[45:46], v[53:54]
	v_add_f64_e64 v[45:46], v[45:46], -v[53:54]
	v_fma_f64 v[53:54], v[216:217], s[14:15], v[204:205]
	v_add_f64_e32 v[51:52], v[47:48], v[55:56]
	v_add_f64_e64 v[47:48], v[47:48], -v[55:56]
	v_fma_f64 v[55:56], v[212:213], s[12:13], v[178:179]
	s_delay_alu instid0(VALU_DEP_4) | instskip(NEXT) | instid1(VALU_DEP_2)
	v_fma_f64 v[53:54], v[206:207], s[4:5], v[53:54]
	v_fma_f64 v[55:56], v[198:199], s[0:1], v[55:56]
	s_delay_alu instid0(VALU_DEP_2) | instskip(NEXT) | instid1(VALU_DEP_2)
	v_fma_f64 v[53:54], v[81:82], s[10:11], v[53:54]
	v_fma_f64 v[55:56], v[79:80], s[10:11], v[55:56]
	s_delay_alu instid0(VALU_DEP_2) | instskip(NEXT) | instid1(VALU_DEP_1)
	v_mul_f64_e32 v[65:66], s[0:1], v[53:54]
	v_fma_f64 v[65:66], v[55:56], s[20:21], v[65:66]
	v_mul_f64_e32 v[55:56], s[4:5], v[55:56]
	s_delay_alu instid0(VALU_DEP_1) | instskip(SKIP_1) | instid1(VALU_DEP_2)
	v_fma_f64 v[55:56], v[53:54], s[20:21], v[55:56]
	v_fma_f64 v[53:54], v[172:173], s[12:13], v[105:106]
	v_add_f64_e32 v[138:139], v[67:68], v[55:56]
	s_delay_alu instid0(VALU_DEP_2) | instskip(SKIP_2) | instid1(VALU_DEP_3)
	v_fma_f64 v[53:54], v[158:159], s[0:1], v[53:54]
	v_add_f64_e64 v[55:56], v[67:68], -v[55:56]
	v_fma_f64 v[67:68], v[198:199], s[14:15], v[196:197]
	v_fma_f64 v[53:54], v[63:64], s[10:11], v[53:54]
	s_delay_alu instid0(VALU_DEP_2) | instskip(NEXT) | instid1(VALU_DEP_2)
	v_fma_f64 v[67:68], v[212:213], s[0:1], v[67:68]
	v_add_f64_e32 v[136:137], v[53:54], v[65:66]
	v_add_f64_e64 v[53:54], v[53:54], -v[65:66]
	v_fma_f64 v[65:66], v[206:207], s[12:13], v[214:215]
	s_delay_alu instid0(VALU_DEP_4) | instskip(NEXT) | instid1(VALU_DEP_2)
	v_fma_f64 v[67:68], v[73:74], s[10:11], v[67:68]
	v_fma_f64 v[65:66], v[216:217], s[4:5], v[65:66]
	s_delay_alu instid0(VALU_DEP_1) | instskip(NEXT) | instid1(VALU_DEP_1)
	v_fma_f64 v[65:66], v[75:76], s[10:11], v[65:66]
	v_mul_f64_e32 v[83:84], s[12:13], v[65:66]
	v_mul_f64_e32 v[65:66], s[10:11], v[65:66]
	s_delay_alu instid0(VALU_DEP_2) | instskip(NEXT) | instid1(VALU_DEP_2)
	v_fma_f64 v[83:84], v[67:68], s[10:11], v[83:84]
	v_fma_f64 v[87:88], v[67:68], s[14:15], v[65:66]
	;; [unrolled: 1-line block ×4, first 2 shown]
	s_delay_alu instid0(VALU_DEP_2) | instskip(NEXT) | instid1(VALU_DEP_2)
	v_fma_f64 v[65:66], v[172:173], s[0:1], v[65:66]
	v_fma_f64 v[67:68], v[176:177], s[4:5], v[67:68]
	s_delay_alu instid0(VALU_DEP_2) | instskip(NEXT) | instid1(VALU_DEP_2)
	v_fma_f64 v[89:90], v[69:70], s[10:11], v[65:66]
	v_fma_f64 v[91:92], v[71:72], s[10:11], v[67:68]
	s_delay_alu instid0(VALU_DEP_2) | instskip(SKIP_2) | instid1(VALU_DEP_4)
	v_add_f64_e32 v[65:66], v[89:90], v[83:84]
	v_add_f64_e64 v[160:161], v[89:90], -v[83:84]
	v_fma_f64 v[83:84], v[158:159], s[12:13], v[156:157]
	v_add_f64_e32 v[67:68], v[91:92], v[87:88]
	v_add_f64_e64 v[162:163], v[91:92], -v[87:88]
	v_fma_f64 v[89:90], v[176:177], s[12:13], v[164:165]
	v_fma_f64 v[91:92], v[212:213], s[14:15], v[178:179]
	;; [unrolled: 1-line block ×3, first 2 shown]
	s_delay_alu instid0(VALU_DEP_3) | instskip(NEXT) | instid1(VALU_DEP_3)
	v_fma_f64 v[89:90], v[166:167], s[0:1], v[89:90]
	v_fma_f64 v[91:92], v[198:199], s[4:5], v[91:92]
	s_delay_alu instid0(VALU_DEP_3) | instskip(SKIP_1) | instid1(VALU_DEP_1)
	v_fma_f64 v[69:70], v[69:70], s[10:11], v[83:84]
	v_fma_f64 v[83:84], v[166:167], s[14:15], v[174:175]
	;; [unrolled: 1-line block ×3, first 2 shown]
	s_delay_alu instid0(VALU_DEP_1) | instskip(SKIP_1) | instid1(VALU_DEP_1)
	v_fma_f64 v[71:72], v[71:72], s[10:11], v[83:84]
	v_fma_f64 v[83:84], v[206:207], s[14:15], v[214:215]
	;; [unrolled: 1-line block ×3, first 2 shown]
	s_delay_alu instid0(VALU_DEP_1) | instskip(SKIP_1) | instid1(VALU_DEP_1)
	v_fma_f64 v[75:76], v[75:76], s[10:11], v[83:84]
	v_fma_f64 v[83:84], v[198:199], s[12:13], v[196:197]
	v_fma_f64 v[83:84], v[212:213], s[4:5], v[83:84]
	s_delay_alu instid0(VALU_DEP_1) | instskip(NEXT) | instid1(VALU_DEP_4)
	v_fma_f64 v[73:74], v[73:74], s[10:11], v[83:84]
	v_mul_f64_e32 v[83:84], s[12:13], v[75:76]
	v_mul_f64_e32 v[75:76], s[16:17], v[75:76]
	s_delay_alu instid0(VALU_DEP_2) | instskip(NEXT) | instid1(VALU_DEP_2)
	v_fma_f64 v[83:84], v[73:74], s[16:17], v[83:84]
	v_fma_f64 v[87:88], v[73:74], s[14:15], v[75:76]
	s_delay_alu instid0(VALU_DEP_2) | instskip(SKIP_2) | instid1(VALU_DEP_4)
	v_add_f64_e32 v[73:74], v[69:70], v[83:84]
	v_add_f64_e64 v[69:70], v[69:70], -v[83:84]
	v_fma_f64 v[83:84], v[216:217], s[12:13], v[204:205]
	v_add_f64_e32 v[75:76], v[71:72], v[87:88]
	v_add_f64_e64 v[71:72], v[71:72], -v[87:88]
	v_fma_f64 v[87:88], v[172:173], s[14:15], v[105:106]
	s_delay_alu instid0(VALU_DEP_4) | instskip(NEXT) | instid1(VALU_DEP_2)
	v_fma_f64 v[83:84], v[206:207], s[0:1], v[83:84]
	v_fma_f64 v[87:88], v[158:159], s[4:5], v[87:88]
	s_delay_alu instid0(VALU_DEP_2) | instskip(NEXT) | instid1(VALU_DEP_2)
	v_fma_f64 v[81:82], v[81:82], s[10:11], v[83:84]
	v_fma_f64 v[63:64], v[63:64], s[10:11], v[87:88]
	;; [unrolled: 1-line block ×4, first 2 shown]
	s_delay_alu instid0(VALU_DEP_4) | instskip(SKIP_1) | instid1(VALU_DEP_2)
	v_mul_f64_e32 v[79:80], s[0:1], v[81:82]
	v_mul_f64_e32 v[81:82], s[18:19], v[81:82]
	v_fma_f64 v[79:80], v[77:78], s[18:19], v[79:80]
	s_delay_alu instid0(VALU_DEP_2) | instskip(NEXT) | instid1(VALU_DEP_2)
	v_fma_f64 v[89:90], v[77:78], s[4:5], v[81:82]
	v_add_f64_e32 v[81:82], v[63:64], v[79:80]
	s_delay_alu instid0(VALU_DEP_2)
	v_add_f64_e32 v[83:84], v[87:88], v[89:90]
	v_add_f64_e64 v[77:78], v[63:64], -v[79:80]
	v_add_f64_e64 v[79:80], v[87:88], -v[89:90]
	v_fma_f64 v[87:88], v[21:22], s[12:13], v[57:58]
	v_mul_f64_e32 v[89:90], s[0:1], v[85:86]
	v_add_f64_e32 v[63:64], v[224:225], v[192:193]
	s_delay_alu instid0(VALU_DEP_3) | instskip(NEXT) | instid1(VALU_DEP_1)
	v_fma_f64 v[87:88], v[246:247], s[0:1], v[87:88]
	v_fma_f64 v[87:88], v[23:24], s[10:11], v[87:88]
	s_delay_alu instid0(VALU_DEP_1) | instskip(SKIP_3) | instid1(VALU_DEP_3)
	v_fma_f64 v[93:94], v[87:88], s[20:21], v[89:90]
	v_mul_f64_e32 v[87:88], s[4:5], v[87:88]
	v_fma_f64 v[89:90], v[238:239], s[14:15], v[7:8]
	v_fma_f64 v[7:8], v[238:239], s[12:13], v[7:8]
	;; [unrolled: 1-line block ×4, first 2 shown]
	s_delay_alu instid0(VALU_DEP_4) | instskip(NEXT) | instid1(VALU_DEP_4)
	v_fma_f64 v[89:90], v[230:231], s[4:5], v[89:90]
	v_fma_f64 v[7:8], v[230:231], s[0:1], v[7:8]
	s_delay_alu instid0(VALU_DEP_3) | instskip(NEXT) | instid1(VALU_DEP_3)
	v_fma_f64 v[85:86], v[222:223], s[0:1], v[85:86]
	v_fma_f64 v[95:96], v[116:117], s[10:11], v[89:90]
	s_delay_alu instid0(VALU_DEP_3) | instskip(NEXT) | instid1(VALU_DEP_3)
	v_fma_f64 v[7:8], v[116:117], s[10:11], v[7:8]
	v_fma_f64 v[85:86], v[63:64], s[10:11], v[85:86]
	s_delay_alu instid0(VALU_DEP_3) | instskip(SKIP_2) | instid1(VALU_DEP_4)
	v_add_f64_e32 v[91:92], v[95:96], v[87:88]
	v_add_f64_e64 v[87:88], v[95:96], -v[87:88]
	v_fma_f64 v[95:96], v[246:247], s[14:15], v[59:60]
	v_add_f64_e32 v[89:90], v[85:86], v[93:94]
	v_add_f64_e64 v[85:86], v[85:86], -v[93:94]
	v_fma_f64 v[93:94], v[252:253], s[12:13], v[43:44]
	s_delay_alu instid0(VALU_DEP_4) | instskip(SKIP_1) | instid1(VALU_DEP_3)
	v_fma_f64 v[95:96], v[21:22], s[0:1], v[95:96]
	v_fma_f64 v[43:44], v[252:253], s[14:15], v[43:44]
	;; [unrolled: 1-line block ×3, first 2 shown]
	s_delay_alu instid0(VALU_DEP_3) | instskip(NEXT) | instid1(VALU_DEP_3)
	v_fma_f64 v[95:96], v[27:28], s[10:11], v[95:96]
	v_fma_f64 v[43:44], v[41:42], s[0:1], v[43:44]
	s_delay_alu instid0(VALU_DEP_3) | instskip(NEXT) | instid1(VALU_DEP_2)
	v_fma_f64 v[93:94], v[25:26], s[10:11], v[93:94]
	v_fma_f64 v[25:26], v[25:26], s[10:11], v[43:44]
	;; [unrolled: 1-line block ×3, first 2 shown]
	v_or_b32_e32 v59, 0x100, v111
	s_delay_alu instid0(VALU_DEP_4) | instskip(SKIP_1) | instid1(VALU_DEP_4)
	v_mul_f64_e32 v[97:98], s[12:13], v[93:94]
	v_mul_f64_e32 v[93:94], s[10:11], v[93:94]
	v_fma_f64 v[43:44], v[21:22], s[4:5], v[43:44]
	v_fma_f64 v[21:22], v[21:22], s[14:15], v[57:58]
	v_and_b32_e32 v57, 0xffff, v59
	v_fma_f64 v[105:106], v[95:96], s[10:11], v[97:98]
	v_fma_f64 v[95:96], v[95:96], s[14:15], v[93:94]
	;; [unrolled: 1-line block ×6, first 2 shown]
	v_mul_f64_e32 v[43:44], s[12:13], v[25:26]
	v_mul_f64_e32 v[25:26], s[16:17], v[25:26]
	v_fma_f64 v[21:22], v[246:247], s[4:5], v[21:22]
	v_fma_f64 v[93:94], v[236:237], s[0:1], v[93:94]
	v_fma_f64 v[5:6], v[236:237], s[4:5], v[5:6]
	v_fma_f64 v[97:98], v[238:239], s[4:5], v[97:98]
	v_fma_f64 v[43:44], v[27:28], s[16:17], v[43:44]
	v_fma_f64 v[25:26], v[27:28], s[14:15], v[25:26]
	v_fma_f64 v[21:22], v[23:24], s[10:11], v[21:22]
	v_fma_f64 v[93:94], v[101:102], s[10:11], v[93:94]
	v_fma_f64 v[5:6], v[101:102], s[10:11], v[5:6]
	v_fma_f64 v[101:102], v[230:231], s[14:15], v[228:229]
	v_fma_f64 v[107:108], v[103:104], s[10:11], v[97:98]
	s_delay_alu instid0(VALU_DEP_4) | instskip(SKIP_1) | instid1(VALU_DEP_4)
	v_add_f64_e32 v[97:98], v[93:94], v[105:106]
	v_add_f64_e64 v[93:94], v[93:94], -v[105:106]
	v_fma_f64 v[101:102], v[238:239], s[0:1], v[101:102]
	v_add_f64_e32 v[105:106], v[5:6], v[43:44]
	v_add_f64_e32 v[99:100], v[107:108], v[95:96]
	v_add_f64_e64 v[95:96], v[107:108], -v[95:96]
	s_delay_alu instid0(VALU_DEP_4) | instskip(SKIP_2) | instid1(VALU_DEP_3)
	v_fma_f64 v[103:104], v[103:104], s[10:11], v[101:102]
	v_add_f64_e64 v[101:102], v[5:6], -v[43:44]
	v_fma_f64 v[5:6], v[41:42], s[12:13], v[61:62]
	v_add_f64_e32 v[107:108], v[103:104], v[25:26]
	v_add_f64_e64 v[103:104], v[103:104], -v[25:26]
	s_delay_alu instid0(VALU_DEP_3) | instskip(SKIP_1) | instid1(VALU_DEP_2)
	v_fma_f64 v[5:6], v[252:253], s[0:1], v[5:6]
	v_fma_f64 v[25:26], v[236:237], s[14:15], v[220:221]
	;; [unrolled: 1-line block ×3, first 2 shown]
	s_delay_alu instid0(VALU_DEP_2) | instskip(NEXT) | instid1(VALU_DEP_2)
	v_fma_f64 v[25:26], v[222:223], s[4:5], v[25:26]
	v_mul_f64_e32 v[23:24], s[0:1], v[5:6]
	v_mul_f64_e32 v[5:6], s[18:19], v[5:6]
	s_delay_alu instid0(VALU_DEP_3) | instskip(SKIP_1) | instid1(VALU_DEP_3)
	v_fma_f64 v[25:26], v[63:64], s[10:11], v[25:26]
	s_mov_b32 s1, 0x3febb67a
	v_fma_f64 v[23:24], v[21:22], s[18:19], v[23:24]
	s_delay_alu instid0(VALU_DEP_3) | instskip(SKIP_4) | instid1(VALU_DEP_2)
	v_fma_f64 v[5:6], v[21:22], s[4:5], v[5:6]
	s_mov_b32 s4, 0xe8584caa
	s_mov_b32 s5, 0xbfebb67a
	s_wait_alu 0xfffe
	s_mov_b32 s0, s4
	v_add_f64_e32 v[128:129], v[25:26], v[23:24]
	s_delay_alu instid0(VALU_DEP_2) | instskip(SKIP_3) | instid1(VALU_DEP_2)
	v_add_f64_e32 v[130:131], v[7:8], v[5:6]
	v_add_f64_e64 v[134:135], v[7:8], -v[5:6]
	v_mul_u32_u24_e32 v5, 10, v111
	v_add_f64_e64 v[132:133], v[25:26], -v[23:24]
	v_lshl_add_u32 v5, v5, 4, 0
	ds_store_b128 v5, v[124:127]
	ds_store_b128 v5, v[152:155] offset:16
	ds_store_b128 v5, v[33:36] offset:32
	;; [unrolled: 1-line block ×22, first 2 shown]
	v_and_b32_e32 v56, 0xff, v111
	ds_store_b128 v5, v[105:108] offset:41008
	ds_store_b128 v5, v[17:20] offset:41040
	;; [unrolled: 1-line block ×7, first 2 shown]
	v_mul_lo_u16 v1, 0xcd, v56
	global_wb scope:SCOPE_SE
	s_wait_dscnt 0x0
	s_barrier_signal -1
	s_barrier_wait -1
	global_inv scope:SCOPE_SE
	v_lshrrev_b16 v60, 11, v1
	v_or_b32_e32 v54, 0x80, v111
	v_or_b32_e32 v53, 0x180, v111
	;; [unrolled: 1-line block ×3, first 2 shown]
	s_delay_alu instid0(VALU_DEP_4) | instskip(NEXT) | instid1(VALU_DEP_4)
	v_mul_lo_u16 v1, v60, 10
	v_and_b32_e32 v63, 0xff, v54
	s_delay_alu instid0(VALU_DEP_4) | instskip(NEXT) | instid1(VALU_DEP_4)
	v_and_b32_e32 v58, 0xffff, v53
	v_and_b32_e32 v61, 0xffff, v55
	s_delay_alu instid0(VALU_DEP_4) | instskip(NEXT) | instid1(VALU_DEP_1)
	v_sub_nc_u16 v1, v111, v1
	v_and_b32_e32 v62, 0xff, v1
	s_delay_alu instid0(VALU_DEP_1) | instskip(NEXT) | instid1(VALU_DEP_1)
	v_mul_u32_u24_e32 v1, 5, v62
	v_lshlrev_b32_e32 v21, 4, v1
	s_clause 0x1
	global_load_b128 v[5:8], v21, s[8:9]
	global_load_b128 v[9:12], v21, s[8:9] offset:16
	ds_load_b128 v[17:20], v120 offset:10240
	ds_load_b128 v[1:4], v120 offset:8192
	;; [unrolled: 1-line block ×3, first 2 shown]
	global_load_b128 v[13:16], v21, s[8:9] offset:32
	s_wait_loadcnt_dscnt 0x202
	v_mul_f64_e32 v[26:27], v[19:20], v[7:8]
	v_mul_f64_e32 v[7:8], v[17:18], v[7:8]
	s_delay_alu instid0(VALU_DEP_2) | instskip(NEXT) | instid1(VALU_DEP_2)
	v_fma_f64 v[76:77], v[17:18], v[5:6], v[26:27]
	v_fma_f64 v[78:79], v[19:20], v[5:6], -v[7:8]
	ds_load_b128 v[5:8], v120 offset:22528
	s_wait_loadcnt_dscnt 0x101
	v_mul_f64_e32 v[17:18], v[24:25], v[11:12]
	v_mul_f64_e32 v[11:12], v[22:23], v[11:12]
	s_delay_alu instid0(VALU_DEP_2) | instskip(NEXT) | instid1(VALU_DEP_2)
	v_fma_f64 v[80:81], v[22:23], v[9:10], v[17:18]
	v_fma_f64 v[82:83], v[24:25], v[9:10], -v[11:12]
	global_load_b128 v[9:12], v21, s[8:9] offset:48
	ds_load_b128 v[17:20], v120 offset:30720
	ds_load_b128 v[22:25], v120 offset:28672
	s_wait_loadcnt_dscnt 0x101
	v_mul_f64_e32 v[26:27], v[19:20], v[15:16]
	v_mul_f64_e32 v[15:16], v[17:18], v[15:16]
	s_delay_alu instid0(VALU_DEP_2) | instskip(NEXT) | instid1(VALU_DEP_2)
	v_fma_f64 v[84:85], v[17:18], v[13:14], v[26:27]
	v_fma_f64 v[86:87], v[19:20], v[13:14], -v[15:16]
	ds_load_b128 v[13:16], v120 offset:40960
	ds_load_b128 v[17:20], v120 offset:43008
	s_wait_loadcnt_dscnt 0x1
	v_mul_f64_e32 v[26:27], v[15:16], v[11:12]
	v_mul_f64_e32 v[11:12], v[13:14], v[11:12]
	s_delay_alu instid0(VALU_DEP_2) | instskip(NEXT) | instid1(VALU_DEP_2)
	v_fma_f64 v[88:89], v[13:14], v[9:10], v[26:27]
	v_fma_f64 v[90:91], v[15:16], v[9:10], -v[11:12]
	v_mul_lo_u16 v9, 0xcd, v63
	s_delay_alu instid0(VALU_DEP_1) | instskip(NEXT) | instid1(VALU_DEP_1)
	v_lshrrev_b16 v108, 11, v9
	v_mul_lo_u16 v9, v108, 10
	s_delay_alu instid0(VALU_DEP_1) | instskip(NEXT) | instid1(VALU_DEP_1)
	v_sub_nc_u16 v9, v54, v9
	v_and_b32_e32 v150, 0xff, v9
	s_delay_alu instid0(VALU_DEP_1) | instskip(NEXT) | instid1(VALU_DEP_1)
	v_mul_u32_u24_e32 v9, 5, v150
	v_lshlrev_b32_e32 v32, 4, v9
	s_clause 0x1
	global_load_b128 v[9:12], v21, s[8:9] offset:64
	global_load_b128 v[13:16], v32, s[8:9]
	ds_load_b128 v[26:29], v120 offset:51200
	ds_load_b128 v[68:71], v120 offset:49152
	s_wait_loadcnt_dscnt 0x101
	v_mul_f64_e32 v[30:31], v[28:29], v[11:12]
	v_mul_f64_e32 v[11:12], v[26:27], v[11:12]
	s_delay_alu instid0(VALU_DEP_2) | instskip(NEXT) | instid1(VALU_DEP_2)
	v_fma_f64 v[92:93], v[26:27], v[9:10], v[30:31]
	v_fma_f64 v[94:95], v[28:29], v[9:10], -v[11:12]
	ds_load_b128 v[9:12], v120 offset:12288
	ds_load_b128 v[26:29], v120 offset:14336
	s_wait_loadcnt_dscnt 0x1
	v_mul_f64_e32 v[30:31], v[11:12], v[15:16]
	s_delay_alu instid0(VALU_DEP_1) | instskip(SKIP_1) | instid1(VALU_DEP_1)
	v_fma_f64 v[96:97], v[9:10], v[13:14], v[30:31]
	v_mul_f64_e32 v[9:10], v[9:10], v[15:16]
	v_fma_f64 v[98:99], v[11:12], v[13:14], -v[9:10]
	s_clause 0x1
	global_load_b128 v[9:12], v32, s[8:9] offset:16
	global_load_b128 v[13:16], v32, s[8:9] offset:32
	s_wait_loadcnt 0x1
	v_mul_f64_e32 v[30:31], v[7:8], v[11:12]
	s_delay_alu instid0(VALU_DEP_1) | instskip(SKIP_1) | instid1(VALU_DEP_1)
	v_fma_f64 v[100:101], v[5:6], v[9:10], v[30:31]
	v_mul_f64_e32 v[5:6], v[5:6], v[11:12]
	v_fma_f64 v[102:103], v[7:8], v[9:10], -v[5:6]
	ds_load_b128 v[5:8], v120 offset:32768
	ds_load_b128 v[9:12], v120 offset:34816
	s_wait_loadcnt_dscnt 0x1
	v_mul_f64_e32 v[30:31], v[7:8], v[15:16]
	s_delay_alu instid0(VALU_DEP_1) | instskip(SKIP_1) | instid1(VALU_DEP_1)
	v_fma_f64 v[104:105], v[5:6], v[13:14], v[30:31]
	v_mul_f64_e32 v[5:6], v[5:6], v[15:16]
	v_fma_f64 v[106:107], v[7:8], v[13:14], -v[5:6]
	s_clause 0x1
	global_load_b128 v[5:8], v32, s[8:9] offset:48
	global_load_b128 v[13:16], v32, s[8:9] offset:64
	s_wait_loadcnt 0x1
	v_mul_f64_e32 v[30:31], v[19:20], v[7:8]
	v_mul_f64_e32 v[7:8], v[17:18], v[7:8]
	s_delay_alu instid0(VALU_DEP_2) | instskip(NEXT) | instid1(VALU_DEP_2)
	v_fma_f64 v[116:117], v[17:18], v[5:6], v[30:31]
	v_fma_f64 v[118:119], v[19:20], v[5:6], -v[7:8]
	ds_load_b128 v[5:8], v120 offset:53248
	ds_load_b128 v[17:20], v120 offset:55296
	s_wait_loadcnt_dscnt 0x1
	v_mul_f64_e32 v[30:31], v[7:8], v[15:16]
	s_delay_alu instid0(VALU_DEP_1) | instskip(SKIP_1) | instid1(VALU_DEP_1)
	v_fma_f64 v[121:122], v[5:6], v[13:14], v[30:31]
	v_mul_f64_e32 v[5:6], v[5:6], v[15:16]
	v_fma_f64 v[124:125], v[7:8], v[13:14], -v[5:6]
	v_mul_u32_u24_e32 v5, 0xcccd, v57
	s_delay_alu instid0(VALU_DEP_1) | instskip(NEXT) | instid1(VALU_DEP_1)
	v_lshrrev_b32_e32 v151, 19, v5
	v_mul_lo_u16 v5, v151, 10
	s_delay_alu instid0(VALU_DEP_1) | instskip(NEXT) | instid1(VALU_DEP_1)
	v_sub_nc_u16 v5, v59, v5
	v_and_b32_e32 v152, 0xffff, v5
	s_delay_alu instid0(VALU_DEP_1) | instskip(NEXT) | instid1(VALU_DEP_1)
	v_mul_u32_u24_e32 v5, 5, v152
	v_lshlrev_b32_e32 v21, 4, v5
	s_clause 0x1
	global_load_b128 v[5:8], v21, s[8:9]
	global_load_b128 v[13:16], v21, s[8:9] offset:16
	s_wait_loadcnt 0x1
	v_mul_f64_e32 v[30:31], v[28:29], v[7:8]
	v_mul_f64_e32 v[7:8], v[26:27], v[7:8]
	s_delay_alu instid0(VALU_DEP_2) | instskip(NEXT) | instid1(VALU_DEP_2)
	v_fma_f64 v[126:127], v[26:27], v[5:6], v[30:31]
	v_fma_f64 v[128:129], v[28:29], v[5:6], -v[7:8]
	ds_load_b128 v[5:8], v120 offset:24576
	ds_load_b128 v[29:32], v120 offset:26624
	s_wait_loadcnt_dscnt 0x1
	v_mul_f64_e32 v[26:27], v[7:8], v[15:16]
	s_delay_alu instid0(VALU_DEP_1) | instskip(SKIP_1) | instid1(VALU_DEP_1)
	v_fma_f64 v[130:131], v[5:6], v[13:14], v[26:27]
	v_mul_f64_e32 v[5:6], v[5:6], v[15:16]
	v_fma_f64 v[132:133], v[7:8], v[13:14], -v[5:6]
	s_clause 0x1
	global_load_b128 v[5:8], v21, s[8:9] offset:32
	global_load_b128 v[13:16], v21, s[8:9] offset:48
	s_wait_loadcnt 0x1
	v_mul_f64_e32 v[26:27], v[11:12], v[7:8]
	v_mul_f64_e32 v[7:8], v[9:10], v[7:8]
	s_delay_alu instid0(VALU_DEP_2) | instskip(NEXT) | instid1(VALU_DEP_2)
	v_fma_f64 v[134:135], v[9:10], v[5:6], v[26:27]
	v_fma_f64 v[136:137], v[11:12], v[5:6], -v[7:8]
	ds_load_b128 v[5:8], v120 offset:45056
	ds_load_b128 v[9:12], v120 offset:47104
	s_wait_loadcnt_dscnt 0x1
	v_mul_f64_e32 v[26:27], v[7:8], v[15:16]
	s_delay_alu instid0(VALU_DEP_1) | instskip(SKIP_1) | instid1(VALU_DEP_1)
	v_fma_f64 v[138:139], v[5:6], v[13:14], v[26:27]
	v_mul_f64_e32 v[5:6], v[5:6], v[15:16]
	v_fma_f64 v[140:141], v[7:8], v[13:14], -v[5:6]
	v_mul_u32_u24_e32 v5, 0xcccd, v58
	s_delay_alu instid0(VALU_DEP_1) | instskip(NEXT) | instid1(VALU_DEP_1)
	v_lshrrev_b32_e32 v66, 19, v5
	v_mul_lo_u16 v5, v66, 10
	s_delay_alu instid0(VALU_DEP_1) | instskip(NEXT) | instid1(VALU_DEP_1)
	v_sub_nc_u16 v5, v53, v5
	v_and_b32_e32 v67, 0xffff, v5
	s_delay_alu instid0(VALU_DEP_1) | instskip(NEXT) | instid1(VALU_DEP_1)
	v_mul_u32_u24_e32 v5, 5, v67
	v_lshlrev_b32_e32 v45, 4, v5
	s_clause 0x1
	global_load_b128 v[5:8], v21, s[8:9] offset:64
	global_load_b128 v[13:16], v45, s[8:9]
	s_wait_loadcnt 0x1
	v_mul_f64_e32 v[26:27], v[19:20], v[7:8]
	v_mul_f64_e32 v[7:8], v[17:18], v[7:8]
	s_delay_alu instid0(VALU_DEP_2) | instskip(NEXT) | instid1(VALU_DEP_2)
	v_fma_f64 v[142:143], v[17:18], v[5:6], v[26:27]
	v_fma_f64 v[144:145], v[19:20], v[5:6], -v[7:8]
	ds_load_b128 v[5:8], v120 offset:16384
	ds_load_b128 v[17:20], v120 offset:18432
	s_wait_loadcnt_dscnt 0x1
	v_mul_f64_e32 v[26:27], v[7:8], v[15:16]
	s_delay_alu instid0(VALU_DEP_1) | instskip(SKIP_1) | instid1(VALU_DEP_1)
	v_fma_f64 v[27:28], v[5:6], v[13:14], v[26:27]
	v_mul_f64_e32 v[5:6], v[5:6], v[15:16]
	v_fma_f64 v[33:34], v[7:8], v[13:14], -v[5:6]
	s_clause 0x1
	global_load_b128 v[5:8], v45, s[8:9] offset:16
	global_load_b128 v[13:16], v45, s[8:9] offset:32
	s_wait_loadcnt 0x1
	v_mul_f64_e32 v[35:36], v[31:32], v[7:8]
	v_mul_f64_e32 v[7:8], v[29:30], v[7:8]
	s_delay_alu instid0(VALU_DEP_2) | instskip(NEXT) | instid1(VALU_DEP_2)
	v_fma_f64 v[37:38], v[29:30], v[5:6], v[35:36]
	v_fma_f64 v[39:40], v[31:32], v[5:6], -v[7:8]
	ds_load_b128 v[5:8], v120 offset:36864
	ds_load_b128 v[29:32], v120 offset:38912
	s_wait_loadcnt_dscnt 0x1
	v_mul_f64_e32 v[35:36], v[7:8], v[15:16]
	s_delay_alu instid0(VALU_DEP_1) | instskip(SKIP_1) | instid1(VALU_DEP_1)
	v_fma_f64 v[43:44], v[5:6], v[13:14], v[35:36]
	v_mul_f64_e32 v[5:6], v[5:6], v[15:16]
	v_fma_f64 v[41:42], v[7:8], v[13:14], -v[5:6]
	s_clause 0x1
	global_load_b128 v[5:8], v45, s[8:9] offset:48
	global_load_b128 v[13:16], v45, s[8:9] offset:64
	s_wait_loadcnt 0x1
	v_mul_f64_e32 v[35:36], v[11:12], v[7:8]
	v_mul_f64_e32 v[7:8], v[9:10], v[7:8]
	s_delay_alu instid0(VALU_DEP_2) | instskip(NEXT) | instid1(VALU_DEP_2)
	v_fma_f64 v[45:46], v[9:10], v[5:6], v[35:36]
	v_fma_f64 v[47:48], v[11:12], v[5:6], -v[7:8]
	ds_load_b128 v[5:8], v120 offset:57344
	ds_load_b128 v[9:12], v120 offset:59392
	s_wait_loadcnt_dscnt 0x1
	v_mul_f64_e32 v[35:36], v[7:8], v[15:16]
	s_delay_alu instid0(VALU_DEP_1) | instskip(SKIP_1) | instid1(VALU_DEP_1)
	v_fma_f64 v[51:52], v[5:6], v[13:14], v[35:36]
	v_mul_f64_e32 v[5:6], v[5:6], v[15:16]
	v_fma_f64 v[49:50], v[7:8], v[13:14], -v[5:6]
	v_mul_u32_u24_e32 v5, 0xcccd, v61
	s_delay_alu instid0(VALU_DEP_1) | instskip(NEXT) | instid1(VALU_DEP_1)
	v_lshrrev_b32_e32 v64, 19, v5
	v_mul_lo_u16 v5, v64, 10
	s_delay_alu instid0(VALU_DEP_1) | instskip(NEXT) | instid1(VALU_DEP_1)
	v_sub_nc_u16 v5, v55, v5
	v_and_b32_e32 v65, 0xffff, v5
	s_delay_alu instid0(VALU_DEP_1) | instskip(NEXT) | instid1(VALU_DEP_1)
	v_mul_u32_u24_e32 v5, 5, v65
	v_lshlrev_b32_e32 v35, 4, v5
	s_clause 0x1
	global_load_b128 v[5:8], v35, s[8:9]
	global_load_b128 v[72:75], v35, s[8:9] offset:16
	s_wait_loadcnt 0x1
	v_mul_f64_e32 v[13:14], v[19:20], v[7:8]
	v_mul_f64_e32 v[7:8], v[17:18], v[7:8]
	s_delay_alu instid0(VALU_DEP_2) | instskip(NEXT) | instid1(VALU_DEP_2)
	v_fma_f64 v[13:14], v[17:18], v[5:6], v[13:14]
	v_fma_f64 v[15:16], v[19:20], v[5:6], -v[7:8]
	s_wait_loadcnt 0x0
	v_mul_f64_e32 v[5:6], v[24:25], v[74:75]
	s_delay_alu instid0(VALU_DEP_1) | instskip(SKIP_1) | instid1(VALU_DEP_1)
	v_fma_f64 v[17:18], v[22:23], v[72:73], v[5:6]
	v_mul_f64_e32 v[5:6], v[22:23], v[74:75]
	v_fma_f64 v[19:20], v[24:25], v[72:73], -v[5:6]
	s_clause 0x1
	global_load_b128 v[5:8], v35, s[8:9] offset:32
	global_load_b128 v[72:75], v35, s[8:9] offset:48
	s_wait_loadcnt 0x1
	v_mul_f64_e32 v[21:22], v[31:32], v[7:8]
	v_mul_f64_e32 v[7:8], v[29:30], v[7:8]
	s_delay_alu instid0(VALU_DEP_2) | instskip(NEXT) | instid1(VALU_DEP_2)
	v_fma_f64 v[23:24], v[29:30], v[5:6], v[21:22]
	v_fma_f64 v[21:22], v[31:32], v[5:6], -v[7:8]
	s_wait_loadcnt 0x0
	v_mul_f64_e32 v[5:6], v[70:71], v[74:75]
	s_delay_alu instid0(VALU_DEP_1) | instskip(SKIP_2) | instid1(VALU_DEP_2)
	v_fma_f64 v[25:26], v[68:69], v[72:73], v[5:6]
	v_mul_f64_e32 v[5:6], v[68:69], v[74:75]
	v_add_f64_e32 v[68:69], v[80:81], v[88:89]
	v_fma_f64 v[29:30], v[70:71], v[72:73], -v[5:6]
	global_load_b128 v[5:8], v35, s[8:9] offset:64
	s_wait_loadcnt_dscnt 0x0
	v_mul_f64_e32 v[31:32], v[11:12], v[7:8]
	v_mul_f64_e32 v[7:8], v[9:10], v[7:8]
	s_delay_alu instid0(VALU_DEP_2) | instskip(NEXT) | instid1(VALU_DEP_2)
	v_fma_f64 v[35:36], v[9:10], v[5:6], v[31:32]
	v_fma_f64 v[31:32], v[11:12], v[5:6], -v[7:8]
	ds_load_b128 v[5:8], v120
	ds_load_b128 v[9:12], v120 offset:2048
	s_wait_dscnt 0x1
	v_fma_f64 v[146:147], v[68:69], -0.5, v[5:6]
	v_add_f64_e32 v[68:69], v[82:83], v[90:91]
	v_add_f64_e32 v[5:6], v[5:6], v[80:81]
	s_delay_alu instid0(VALU_DEP_2) | instskip(SKIP_2) | instid1(VALU_DEP_4)
	v_fma_f64 v[148:149], v[68:69], -0.5, v[7:8]
	v_add_f64_e32 v[68:69], v[76:77], v[84:85]
	v_add_f64_e32 v[7:8], v[7:8], v[82:83]
	;; [unrolled: 1-line block ×3, first 2 shown]
	v_add_f64_e64 v[88:89], v[80:81], -v[88:89]
	s_delay_alu instid0(VALU_DEP_4) | instskip(SKIP_3) | instid1(VALU_DEP_3)
	v_add_f64_e32 v[72:73], v[68:69], v[92:93]
	v_add_f64_e32 v[68:69], v[78:79], v[86:87]
	;; [unrolled: 1-line block ×3, first 2 shown]
	v_add_f64_e64 v[90:91], v[82:83], -v[90:91]
	v_add_f64_e32 v[74:75], v[68:69], v[94:95]
	v_add_f64_e32 v[68:69], v[5:6], v[72:73]
	v_add_f64_e64 v[72:73], v[5:6], -v[72:73]
	v_add_f64_e32 v[5:6], v[84:85], v[92:93]
	s_delay_alu instid0(VALU_DEP_4)
	v_add_f64_e32 v[70:71], v[7:8], v[74:75]
	v_add_f64_e64 v[74:75], v[7:8], -v[74:75]
	v_add_f64_e64 v[7:8], v[84:85], -v[92:93]
	v_add_f64_e32 v[84:85], v[86:87], v[94:95]
	v_add_f64_e64 v[86:87], v[86:87], -v[94:95]
	v_fma_f64 v[5:6], v[5:6], -0.5, v[76:77]
	s_wait_alu 0xfffe
	v_fma_f64 v[94:95], v[88:89], s[0:1], v[148:149]
	s_delay_alu instid0(VALU_DEP_4) | instskip(NEXT) | instid1(VALU_DEP_3)
	v_fma_f64 v[84:85], v[84:85], -0.5, v[78:79]
	v_fma_f64 v[80:81], v[86:87], s[4:5], v[5:6]
	v_fma_f64 v[5:6], v[86:87], s[0:1], v[5:6]
	s_delay_alu instid0(VALU_DEP_3) | instskip(SKIP_1) | instid1(VALU_DEP_2)
	v_fma_f64 v[76:77], v[7:8], s[0:1], v[84:85]
	v_fma_f64 v[7:8], v[7:8], s[4:5], v[84:85]
	v_mul_f64_e32 v[78:79], s[4:5], v[76:77]
	v_mul_f64_e32 v[76:77], 0.5, v[76:77]
	s_delay_alu instid0(VALU_DEP_3) | instskip(SKIP_1) | instid1(VALU_DEP_4)
	v_mul_f64_e32 v[84:85], s[4:5], v[7:8]
	v_mul_f64_e32 v[7:8], -0.5, v[7:8]
	v_fma_f64 v[82:83], v[80:81], 0.5, v[78:79]
	s_delay_alu instid0(VALU_DEP_4) | instskip(SKIP_2) | instid1(VALU_DEP_3)
	v_fma_f64 v[92:93], v[80:81], s[0:1], v[76:77]
	v_fma_f64 v[80:81], v[90:91], s[4:5], v[146:147]
	;; [unrolled: 1-line block ×3, first 2 shown]
	v_add_f64_e32 v[78:79], v[94:95], v[92:93]
	s_delay_alu instid0(VALU_DEP_3)
	v_add_f64_e32 v[76:77], v[80:81], v[82:83]
	v_add_f64_e64 v[80:81], v[80:81], -v[82:83]
	v_add_f64_e64 v[82:83], v[94:95], -v[92:93]
	v_fma_f64 v[92:93], v[88:89], s[4:5], v[148:149]
	v_fma_f64 v[88:89], v[5:6], -0.5, v[84:85]
	v_fma_f64 v[5:6], v[5:6], s[0:1], v[7:8]
	s_delay_alu instid0(VALU_DEP_2) | instskip(NEXT) | instid1(VALU_DEP_2)
	v_add_f64_e32 v[84:85], v[90:91], v[88:89]
	v_add_f64_e32 v[86:87], v[92:93], v[5:6]
	v_add_f64_e64 v[88:89], v[90:91], -v[88:89]
	v_add_f64_e64 v[90:91], v[92:93], -v[5:6]
	v_and_b32_e32 v5, 0xffff, v60
	v_lshlrev_b32_e32 v6, 4, v62
	v_lshlrev_b32_e32 v62, 4, v150
	s_delay_alu instid0(VALU_DEP_3) | instskip(NEXT) | instid1(VALU_DEP_1)
	v_mul_u32_u24_e32 v5, 0x3c0, v5
	v_add3_u32 v60, 0, v5, v6
	ds_load_b128 v[92:95], v120 offset:4096
	ds_load_b128 v[5:8], v120 offset:6144
	global_wb scope:SCOPE_SE
	s_wait_dscnt 0x0
	s_barrier_signal -1
	s_barrier_wait -1
	global_inv scope:SCOPE_SE
	ds_store_b128 v60, v[68:71]
	ds_store_b128 v60, v[76:79] offset:160
	ds_store_b128 v60, v[72:75] offset:480
	;; [unrolled: 1-line block ×5, first 2 shown]
	v_add_f64_e32 v[68:69], v[100:101], v[116:117]
	v_add_f64_e64 v[84:85], v[104:105], -v[121:122]
	v_add_f64_e64 v[88:89], v[102:103], -v[118:119]
	;; [unrolled: 1-line block ×3, first 2 shown]
	v_and_b32_e32 v60, 0xffff, v108
	s_delay_alu instid0(VALU_DEP_1) | instskip(NEXT) | instid1(VALU_DEP_1)
	v_mul_u32_u24_e32 v60, 0x3c0, v60
	v_add3_u32 v60, 0, v60, v62
	v_lshlrev_b32_e32 v62, 4, v152
	v_fma_f64 v[80:81], v[68:69], -0.5, v[9:10]
	v_add_f64_e32 v[68:69], v[102:103], v[118:119]
	v_add_f64_e32 v[9:10], v[9:10], v[100:101]
	s_delay_alu instid0(VALU_DEP_2) | instskip(NEXT) | instid1(VALU_DEP_2)
	v_fma_f64 v[82:83], v[68:69], -0.5, v[11:12]
	v_add_f64_e32 v[68:69], v[9:10], v[116:117]
	v_add_f64_e32 v[9:10], v[96:97], v[104:105]
	;; [unrolled: 1-line block ×3, first 2 shown]
	s_delay_alu instid0(VALU_DEP_4) | instskip(NEXT) | instid1(VALU_DEP_3)
	v_fma_f64 v[102:103], v[90:91], s[0:1], v[82:83]
	v_add_f64_e32 v[72:73], v[9:10], v[121:122]
	v_add_f64_e32 v[9:10], v[98:99], v[106:107]
	s_delay_alu instid0(VALU_DEP_4) | instskip(NEXT) | instid1(VALU_DEP_2)
	v_add_f64_e32 v[70:71], v[11:12], v[118:119]
	v_add_f64_e32 v[74:75], v[9:10], v[124:125]
	s_delay_alu instid0(VALU_DEP_4) | instskip(SKIP_2) | instid1(VALU_DEP_4)
	v_add_f64_e32 v[9:10], v[68:69], v[72:73]
	v_add_f64_e64 v[68:69], v[68:69], -v[72:73]
	v_add_f64_e32 v[72:73], v[104:105], v[121:122]
	v_add_f64_e32 v[11:12], v[70:71], v[74:75]
	v_add_f64_e64 v[70:71], v[70:71], -v[74:75]
	v_add_f64_e32 v[74:75], v[106:107], v[124:125]
	s_delay_alu instid0(VALU_DEP_4) | instskip(NEXT) | instid1(VALU_DEP_2)
	v_fma_f64 v[96:97], v[72:73], -0.5, v[96:97]
	v_fma_f64 v[86:87], v[74:75], -0.5, v[98:99]
	v_add_f64_e64 v[98:99], v[106:107], -v[124:125]
	s_delay_alu instid0(VALU_DEP_2) | instskip(NEXT) | instid1(VALU_DEP_2)
	v_fma_f64 v[72:73], v[84:85], s[0:1], v[86:87]
	v_fma_f64 v[76:77], v[98:99], s[4:5], v[96:97]
	;; [unrolled: 1-line block ×4, first 2 shown]
	s_delay_alu instid0(VALU_DEP_4) | instskip(SKIP_1) | instid1(VALU_DEP_2)
	v_mul_f64_e32 v[74:75], s[4:5], v[72:73]
	v_mul_f64_e32 v[72:73], 0.5, v[72:73]
	v_fma_f64 v[78:79], v[76:77], 0.5, v[74:75]
	s_delay_alu instid0(VALU_DEP_2)
	v_fma_f64 v[100:101], v[76:77], s[0:1], v[72:73]
	v_fma_f64 v[76:77], v[88:89], s[4:5], v[80:81]
	;; [unrolled: 1-line block ×4, first 2 shown]
	v_mul_f64_e32 v[82:83], s[4:5], v[84:85]
	v_mul_f64_e32 v[84:85], -0.5, v[84:85]
	v_add_f64_e32 v[74:75], v[102:103], v[100:101]
	v_add_f64_e32 v[72:73], v[76:77], v[78:79]
	v_add_f64_e64 v[76:77], v[76:77], -v[78:79]
	v_add_f64_e64 v[78:79], v[102:103], -v[100:101]
	v_fma_f64 v[90:91], v[80:81], -0.5, v[82:83]
	v_fma_f64 v[96:97], v[80:81], s[0:1], v[84:85]
	s_delay_alu instid0(VALU_DEP_2) | instskip(NEXT) | instid1(VALU_DEP_2)
	v_add_f64_e32 v[80:81], v[86:87], v[90:91]
	v_add_f64_e32 v[82:83], v[88:89], v[96:97]
	v_add_f64_e64 v[84:85], v[86:87], -v[90:91]
	v_add_f64_e64 v[86:87], v[88:89], -v[96:97]
	ds_store_b128 v60, v[9:12]
	ds_store_b128 v60, v[72:75] offset:160
	ds_store_b128 v60, v[80:83] offset:320
	ds_store_b128 v60, v[68:71] offset:480
	ds_store_b128 v60, v[76:79] offset:640
	ds_store_b128 v60, v[84:87] offset:800
	v_add_f64_e32 v[9:10], v[130:131], v[138:139]
	v_add_f64_e32 v[68:69], v[126:127], v[134:135]
	;; [unrolled: 1-line block ×3, first 2 shown]
	v_add_f64_e64 v[84:85], v[134:135], -v[142:143]
	v_add_f64_e64 v[88:89], v[132:133], -v[140:141]
	;; [unrolled: 1-line block ×3, first 2 shown]
	v_mul_u32_u24_e32 v60, 0x3c0, v151
	s_delay_alu instid0(VALU_DEP_1) | instskip(SKIP_2) | instid1(VALU_DEP_2)
	v_add3_u32 v60, 0, v60, v62
	v_mul_u32_u24_e32 v62, 0x8889, v61
	v_or_b32_e32 v61, 0x280, v111
	v_lshrrev_b32_e32 v173, 21, v62
	v_fma_f64 v[80:81], v[9:10], -0.5, v[92:93]
	v_add_f64_e32 v[9:10], v[132:133], v[140:141]
	v_add_f64_e32 v[72:73], v[68:69], v[142:143]
	;; [unrolled: 1-line block ×4, first 2 shown]
	s_delay_alu instid0(VALU_DEP_4) | instskip(SKIP_1) | instid1(VALU_DEP_4)
	v_fma_f64 v[82:83], v[9:10], -0.5, v[94:95]
	v_add_f64_e32 v[9:10], v[92:93], v[130:131]
	v_add_f64_e32 v[74:75], v[68:69], v[144:145]
	v_add_f64_e64 v[92:93], v[136:137], -v[144:145]
	s_delay_alu instid0(VALU_DEP_4) | instskip(NEXT) | instid1(VALU_DEP_4)
	v_fma_f64 v[98:99], v[90:91], s[0:1], v[82:83]
	v_add_f64_e32 v[9:10], v[9:10], v[138:139]
	s_delay_alu instid0(VALU_DEP_4) | instskip(SKIP_2) | instid1(VALU_DEP_4)
	v_add_f64_e32 v[70:71], v[11:12], v[74:75]
	v_add_f64_e64 v[11:12], v[11:12], -v[74:75]
	v_add_f64_e32 v[74:75], v[136:137], v[144:145]
	v_add_f64_e32 v[68:69], v[9:10], v[72:73]
	v_add_f64_e64 v[9:10], v[9:10], -v[72:73]
	v_add_f64_e32 v[72:73], v[134:135], v[142:143]
	s_delay_alu instid0(VALU_DEP_4) | instskip(NEXT) | instid1(VALU_DEP_2)
	v_fma_f64 v[86:87], v[74:75], -0.5, v[128:129]
	v_fma_f64 v[94:95], v[72:73], -0.5, v[126:127]
	s_delay_alu instid0(VALU_DEP_2) | instskip(SKIP_2) | instid1(VALU_DEP_4)
	v_fma_f64 v[72:73], v[84:85], s[0:1], v[86:87]
	v_fma_f64 v[84:85], v[84:85], s[4:5], v[86:87]
	;; [unrolled: 1-line block ×4, first 2 shown]
	s_delay_alu instid0(VALU_DEP_4) | instskip(SKIP_1) | instid1(VALU_DEP_2)
	v_mul_f64_e32 v[74:75], s[4:5], v[72:73]
	v_mul_f64_e32 v[72:73], 0.5, v[72:73]
	v_fma_f64 v[78:79], v[76:77], 0.5, v[74:75]
	s_delay_alu instid0(VALU_DEP_2)
	v_fma_f64 v[96:97], v[76:77], s[0:1], v[72:73]
	v_fma_f64 v[76:77], v[88:89], s[4:5], v[80:81]
	;; [unrolled: 1-line block ×4, first 2 shown]
	v_mul_f64_e32 v[82:83], s[4:5], v[84:85]
	v_mul_f64_e32 v[84:85], -0.5, v[84:85]
	v_add_f64_e32 v[74:75], v[98:99], v[96:97]
	v_add_f64_e32 v[72:73], v[76:77], v[78:79]
	v_add_f64_e64 v[76:77], v[76:77], -v[78:79]
	v_add_f64_e64 v[78:79], v[98:99], -v[96:97]
	v_fma_f64 v[90:91], v[80:81], -0.5, v[82:83]
	v_fma_f64 v[92:93], v[80:81], s[0:1], v[84:85]
	s_delay_alu instid0(VALU_DEP_2) | instskip(NEXT) | instid1(VALU_DEP_2)
	v_add_f64_e32 v[80:81], v[86:87], v[90:91]
	v_add_f64_e32 v[82:83], v[88:89], v[92:93]
	v_add_f64_e64 v[84:85], v[86:87], -v[90:91]
	v_add_f64_e64 v[86:87], v[88:89], -v[92:93]
	ds_store_b128 v60, v[68:71]
	ds_store_b128 v60, v[72:75] offset:160
	ds_store_b128 v60, v[80:83] offset:320
	;; [unrolled: 1-line block ×5, first 2 shown]
	v_add_f64_e32 v[9:10], v[37:38], v[45:46]
	v_mul_u32_u24_e32 v60, 0x8889, v58
	s_delay_alu instid0(VALU_DEP_1) | instskip(NEXT) | instid1(VALU_DEP_3)
	v_lshrrev_b32_e32 v170, 21, v60
	v_fma_f64 v[68:69], v[9:10], -0.5, v[5:6]
	v_add_f64_e32 v[9:10], v[39:40], v[47:48]
	v_add_f64_e32 v[5:6], v[5:6], v[37:38]
	s_delay_alu instid0(VALU_DEP_2) | instskip(NEXT) | instid1(VALU_DEP_2)
	v_fma_f64 v[70:71], v[9:10], -0.5, v[7:8]
	v_add_f64_e32 v[9:10], v[5:6], v[45:46]
	v_add_f64_e32 v[5:6], v[27:28], v[43:44]
	;; [unrolled: 1-line block ×3, first 2 shown]
	v_add_f64_e64 v[45:46], v[37:38], -v[45:46]
	s_delay_alu instid0(VALU_DEP_3) | instskip(SKIP_1) | instid1(VALU_DEP_4)
	v_add_f64_e32 v[72:73], v[5:6], v[51:52]
	v_add_f64_e32 v[5:6], v[33:34], v[41:42]
	;; [unrolled: 1-line block ×3, first 2 shown]
	v_add_f64_e64 v[47:48], v[39:40], -v[47:48]
	s_delay_alu instid0(VALU_DEP_3)
	v_add_f64_e32 v[74:75], v[5:6], v[49:50]
	v_add_f64_e32 v[5:6], v[9:10], v[72:73]
	v_add_f64_e64 v[9:10], v[9:10], -v[72:73]
	v_add_f64_e32 v[72:73], v[43:44], v[51:52]
	v_add_f64_e64 v[51:52], v[43:44], -v[51:52]
	;; [unrolled: 2-line block ×4, first 2 shown]
	v_fma_f64 v[74:75], v[45:46], s[0:1], v[70:71]
	v_fma_f64 v[27:28], v[72:73], -0.5, v[27:28]
	v_fma_f64 v[33:34], v[43:44], -0.5, v[33:34]
	s_delay_alu instid0(VALU_DEP_2) | instskip(SKIP_1) | instid1(VALU_DEP_3)
	v_fma_f64 v[41:42], v[49:50], s[4:5], v[27:28]
	v_fma_f64 v[27:28], v[49:50], s[0:1], v[27:28]
	;; [unrolled: 1-line block ×5, first 2 shown]
	s_delay_alu instid0(VALU_DEP_3) | instskip(SKIP_1) | instid1(VALU_DEP_2)
	v_mul_f64_e32 v[39:40], s[4:5], v[37:38]
	v_mul_f64_e32 v[37:38], 0.5, v[37:38]
	v_fma_f64 v[43:44], v[41:42], 0.5, v[39:40]
	s_delay_alu instid0(VALU_DEP_2)
	v_fma_f64 v[72:73], v[41:42], s[0:1], v[37:38]
	v_fma_f64 v[41:42], v[47:48], s[4:5], v[68:69]
	v_fma_f64 v[68:69], v[45:46], s[4:5], v[70:71]
	v_mul_f64_e32 v[45:46], s[4:5], v[33:34]
	v_mul_f64_e32 v[33:34], -0.5, v[33:34]
	v_add_f64_e32 v[39:40], v[74:75], v[72:73]
	v_add_f64_e32 v[37:38], v[41:42], v[43:44]
	v_add_f64_e64 v[41:42], v[41:42], -v[43:44]
	v_fma_f64 v[49:50], v[27:28], -0.5, v[45:46]
	v_fma_f64 v[27:28], v[27:28], s[0:1], v[33:34]
	v_add_f64_e64 v[43:44], v[74:75], -v[72:73]
	s_delay_alu instid0(VALU_DEP_3) | instskip(NEXT) | instid1(VALU_DEP_3)
	v_add_f64_e32 v[45:46], v[51:52], v[49:50]
	v_add_f64_e32 v[47:48], v[68:69], v[27:28]
	v_add_f64_e64 v[49:50], v[51:52], -v[49:50]
	v_add_f64_e64 v[51:52], v[68:69], -v[27:28]
	v_mul_u32_u24_e32 v27, 0x3c0, v66
	v_lshlrev_b32_e32 v28, 4, v67
	s_delay_alu instid0(VALU_DEP_1)
	v_add3_u32 v27, 0, v27, v28
	ds_store_b128 v27, v[5:8]
	ds_store_b128 v27, v[37:40] offset:160
	ds_store_b128 v27, v[45:48] offset:320
	;; [unrolled: 1-line block ×5, first 2 shown]
	v_add_f64_e32 v[5:6], v[17:18], v[25:26]
	v_mul_u32_u24_e32 v51, 0x445, v186
	v_or_b32_e32 v41, 0x400, v111
	v_or_b32_e32 v42, 0x480, v111
	;; [unrolled: 1-line block ×4, first 2 shown]
	v_lshrrev_b32_e32 v178, 16, v51
	v_or_b32_e32 v49, 0x600, v111
	v_or_b32_e32 v50, 0x680, v111
	v_fma_f64 v[27:28], v[5:6], -0.5, v[1:2]
	v_add_f64_e32 v[5:6], v[19:20], v[29:30]
	v_add_f64_e32 v[1:2], v[1:2], v[17:18]
	s_delay_alu instid0(VALU_DEP_2) | instskip(NEXT) | instid1(VALU_DEP_2)
	v_fma_f64 v[33:34], v[5:6], -0.5, v[3:4]
	v_add_f64_e32 v[5:6], v[1:2], v[25:26]
	v_add_f64_e32 v[1:2], v[13:14], v[23:24]
	;; [unrolled: 1-line block ×3, first 2 shown]
	v_add_f64_e64 v[19:20], v[19:20], -v[29:30]
	v_add_f64_e64 v[25:26], v[17:18], -v[25:26]
	s_delay_alu instid0(VALU_DEP_4) | instskip(SKIP_2) | instid1(VALU_DEP_2)
	v_add_f64_e32 v[9:10], v[1:2], v[35:36]
	v_add_f64_e32 v[1:2], v[15:16], v[21:22]
	;; [unrolled: 1-line block ×4, first 2 shown]
	s_delay_alu instid0(VALU_DEP_4)
	v_add_f64_e32 v[1:2], v[5:6], v[9:10]
	v_add_f64_e64 v[5:6], v[5:6], -v[9:10]
	v_add_f64_e32 v[9:10], v[23:24], v[35:36]
	v_add_f64_e64 v[23:24], v[23:24], -v[35:36]
	;; [unrolled: 2-line block ×4, first 2 shown]
	v_fma_f64 v[13:14], v[9:10], -0.5, v[13:14]
	v_fma_f64 v[31:32], v[25:26], s[0:1], v[33:34]
	v_fma_f64 v[25:26], v[25:26], s[4:5], v[33:34]
	v_mul_lo_u16 v33, 0x89, v63
	v_mul_u32_u24_e32 v34, 0x8889, v57
	v_or_b32_e32 v57, 0x700, v111
	s_delay_alu instid0(VALU_DEP_2) | instskip(SKIP_3) | instid1(VALU_DEP_3)
	v_lshrrev_b32_e32 v108, 21, v34
	v_fma_f64 v[35:36], v[11:12], -0.5, v[15:16]
	v_fma_f64 v[15:16], v[21:22], s[4:5], v[13:14]
	v_fma_f64 v[13:14], v[21:22], s[0:1], v[13:14]
	;; [unrolled: 1-line block ×4, first 2 shown]
	v_lshrrev_b16 v35, 13, v33
	s_delay_alu instid0(VALU_DEP_3) | instskip(SKIP_1) | instid1(VALU_DEP_4)
	v_mul_f64_e32 v[11:12], s[4:5], v[9:10]
	v_mul_f64_e32 v[9:10], 0.5, v[9:10]
	v_mul_f64_e32 v[21:22], -0.5, v[23:24]
	s_delay_alu instid0(VALU_DEP_3) | instskip(NEXT) | instid1(VALU_DEP_3)
	v_fma_f64 v[17:18], v[15:16], 0.5, v[11:12]
	v_fma_f64 v[29:30], v[15:16], s[0:1], v[9:10]
	v_fma_f64 v[15:16], v[19:20], s[4:5], v[27:28]
	;; [unrolled: 1-line block ×3, first 2 shown]
	v_mul_f64_e32 v[19:20], s[4:5], v[23:24]
	s_delay_alu instid0(VALU_DEP_4) | instskip(NEXT) | instid1(VALU_DEP_4)
	v_add_f64_e32 v[11:12], v[31:32], v[29:30]
	v_add_f64_e32 v[9:10], v[15:16], v[17:18]
	v_add_f64_e64 v[15:16], v[15:16], -v[17:18]
	s_delay_alu instid0(VALU_DEP_4) | instskip(SKIP_3) | instid1(VALU_DEP_4)
	v_fma_f64 v[23:24], v[13:14], -0.5, v[19:20]
	v_fma_f64 v[13:14], v[13:14], s[0:1], v[21:22]
	v_add_f64_e64 v[17:18], v[31:32], -v[29:30]
	v_cmp_gt_u32_e64 s0, 0x78, v111
	v_add_f64_e32 v[19:20], v[27:28], v[23:24]
	s_delay_alu instid0(VALU_DEP_4)
	v_add_f64_e32 v[21:22], v[25:26], v[13:14]
	v_add_f64_e64 v[25:26], v[25:26], -v[13:14]
	v_mul_u32_u24_e32 v13, 0x3c0, v64
	v_lshlrev_b32_e32 v14, 4, v65
	v_add_f64_e64 v[23:24], v[27:28], -v[23:24]
	v_or_b32_e32 v64, 0x300, v111
	s_delay_alu instid0(VALU_DEP_3)
	v_add3_u32 v27, 0, v13, v14
	ds_store_b128 v27, v[1:4]
	v_mul_lo_u16 v1, 0x89, v56
	ds_store_b128 v27, v[9:12] offset:160
	ds_store_b128 v27, v[19:22] offset:320
	;; [unrolled: 1-line block ×5, first 2 shown]
	v_lshrrev_b16 v13, 13, v1
	global_wb scope:SCOPE_SE
	s_wait_dscnt 0x0
	s_barrier_signal -1
	s_barrier_wait -1
	global_inv scope:SCOPE_SE
	v_mul_lo_u16 v1, v13, 60
	v_mul_lo_u16 v5, v35, 60
	v_and_b32_e32 v35, 0xffff, v35
	s_delay_alu instid0(VALU_DEP_3) | instskip(NEXT) | instid1(VALU_DEP_3)
	v_sub_nc_u16 v1, v111, v1
	v_sub_nc_u16 v5, v54, v5
	s_delay_alu instid0(VALU_DEP_3) | instskip(NEXT) | instid1(VALU_DEP_3)
	v_mul_u32_u24_e32 v35, 0x780, v35
	v_and_b32_e32 v1, 0xff, v1
	s_delay_alu instid0(VALU_DEP_3) | instskip(NEXT) | instid1(VALU_DEP_2)
	v_and_b32_e32 v5, 0xff, v5
	v_lshlrev_b32_e32 v14, 4, v1
	s_delay_alu instid0(VALU_DEP_2)
	v_lshlrev_b32_e32 v36, 4, v5
	s_clause 0x1
	global_load_b128 v[1:4], v14, s[8:9] offset:800
	global_load_b128 v[5:8], v36, s[8:9] offset:800
	ds_load_b128 v[9:12], v120 offset:30720
	ds_load_b128 v[72:75], v123
	v_add3_u32 v35, 0, v35, v36
	s_wait_loadcnt_dscnt 0x101
	v_mul_f64_e32 v[15:16], v[11:12], v[3:4]
	v_mul_f64_e32 v[3:4], v[9:10], v[3:4]
	s_delay_alu instid0(VALU_DEP_2) | instskip(NEXT) | instid1(VALU_DEP_2)
	v_fma_f64 v[15:16], v[9:10], v[1:2], v[15:16]
	v_fma_f64 v[82:83], v[11:12], v[1:2], -v[3:4]
	ds_load_b128 v[1:4], v120 offset:32768
	ds_load_b128 v[9:12], v120 offset:34816
	s_wait_loadcnt_dscnt 0x1
	v_mul_f64_e32 v[17:18], v[3:4], v[7:8]
	s_delay_alu instid0(VALU_DEP_1) | instskip(SKIP_1) | instid1(VALU_DEP_1)
	v_fma_f64 v[116:117], v[1:2], v[5:6], v[17:18]
	v_mul_f64_e32 v[1:2], v[1:2], v[7:8]
	v_fma_f64 v[118:119], v[3:4], v[5:6], -v[1:2]
	v_mul_lo_u16 v1, v108, 60
	v_mul_lo_u16 v2, v170, 60
	s_delay_alu instid0(VALU_DEP_2) | instskip(NEXT) | instid1(VALU_DEP_2)
	v_sub_nc_u16 v1, v59, v1
	v_sub_nc_u16 v2, v53, v2
	s_delay_alu instid0(VALU_DEP_2) | instskip(NEXT) | instid1(VALU_DEP_2)
	v_and_b32_e32 v1, 0xffff, v1
	v_and_b32_e32 v2, 0xffff, v2
	s_delay_alu instid0(VALU_DEP_2) | instskip(NEXT) | instid1(VALU_DEP_2)
	v_lshlrev_b32_e32 v171, 4, v1
	v_lshlrev_b32_e32 v172, 4, v2
	s_clause 0x1
	global_load_b128 v[1:4], v171, s[8:9] offset:800
	global_load_b128 v[5:8], v172, s[8:9] offset:800
	s_wait_loadcnt_dscnt 0x100
	v_mul_f64_e32 v[17:18], v[11:12], v[3:4]
	v_mul_f64_e32 v[3:4], v[9:10], v[3:4]
	s_delay_alu instid0(VALU_DEP_2) | instskip(NEXT) | instid1(VALU_DEP_2)
	v_fma_f64 v[121:122], v[9:10], v[1:2], v[17:18]
	v_fma_f64 v[136:137], v[11:12], v[1:2], -v[3:4]
	ds_load_b128 v[1:4], v120 offset:36864
	ds_load_b128 v[9:12], v120 offset:38912
	s_wait_loadcnt_dscnt 0x1
	v_mul_f64_e32 v[17:18], v[3:4], v[7:8]
	s_delay_alu instid0(VALU_DEP_1) | instskip(SKIP_1) | instid1(VALU_DEP_1)
	v_fma_f64 v[138:139], v[1:2], v[5:6], v[17:18]
	v_mul_f64_e32 v[1:2], v[1:2], v[7:8]
	v_fma_f64 v[140:141], v[3:4], v[5:6], -v[1:2]
	v_and_b32_e32 v1, 0xffff, v61
	s_delay_alu instid0(VALU_DEP_1) | instskip(SKIP_1) | instid1(VALU_DEP_2)
	v_mul_u32_u24_e32 v63, 0x8889, v1
	v_mul_lo_u16 v1, v173, 60
	v_lshrrev_b32_e32 v174, 21, v63
	s_delay_alu instid0(VALU_DEP_2) | instskip(NEXT) | instid1(VALU_DEP_2)
	v_sub_nc_u16 v1, v55, v1
	v_mul_lo_u16 v2, v174, 60
	s_delay_alu instid0(VALU_DEP_2) | instskip(NEXT) | instid1(VALU_DEP_2)
	v_and_b32_e32 v1, 0xffff, v1
	v_sub_nc_u16 v2, v61, v2
	s_delay_alu instid0(VALU_DEP_2) | instskip(NEXT) | instid1(VALU_DEP_2)
	v_lshlrev_b32_e32 v175, 4, v1
	v_and_b32_e32 v2, 0xffff, v2
	s_delay_alu instid0(VALU_DEP_1)
	v_lshlrev_b32_e32 v176, 4, v2
	s_clause 0x1
	global_load_b128 v[1:4], v175, s[8:9] offset:800
	global_load_b128 v[5:8], v176, s[8:9] offset:800
	s_wait_loadcnt_dscnt 0x100
	v_mul_f64_e32 v[17:18], v[11:12], v[3:4]
	v_mul_f64_e32 v[3:4], v[9:10], v[3:4]
	s_delay_alu instid0(VALU_DEP_2) | instskip(NEXT) | instid1(VALU_DEP_2)
	v_fma_f64 v[142:143], v[9:10], v[1:2], v[17:18]
	v_fma_f64 v[144:145], v[11:12], v[1:2], -v[3:4]
	ds_load_b128 v[1:4], v120 offset:40960
	ds_load_b128 v[9:12], v120 offset:43008
	s_wait_loadcnt_dscnt 0x1
	v_mul_f64_e32 v[17:18], v[3:4], v[7:8]
	s_delay_alu instid0(VALU_DEP_1) | instskip(SKIP_1) | instid1(VALU_DEP_1)
	v_fma_f64 v[146:147], v[1:2], v[5:6], v[17:18]
	v_mul_f64_e32 v[1:2], v[1:2], v[7:8]
	v_fma_f64 v[148:149], v[3:4], v[5:6], -v[1:2]
	v_and_b32_e32 v1, 0xffff, v64
	v_mul_lo_u16 v2, v178, 60
	s_delay_alu instid0(VALU_DEP_2) | instskip(NEXT) | instid1(VALU_DEP_2)
	v_mul_u32_u24_e32 v65, 0x8889, v1
	v_sub_nc_u16 v2, v186, v2
	s_delay_alu instid0(VALU_DEP_2) | instskip(NEXT) | instid1(VALU_DEP_2)
	v_lshrrev_b32_e32 v177, 21, v65
	v_and_b32_e32 v2, 0xffff, v2
	s_delay_alu instid0(VALU_DEP_2) | instskip(NEXT) | instid1(VALU_DEP_2)
	v_mul_lo_u16 v1, v177, 60
	v_lshlrev_b32_e32 v180, 4, v2
	s_delay_alu instid0(VALU_DEP_2) | instskip(NEXT) | instid1(VALU_DEP_1)
	v_sub_nc_u16 v1, v64, v1
	v_and_b32_e32 v1, 0xffff, v1
	s_delay_alu instid0(VALU_DEP_1)
	v_lshlrev_b32_e32 v179, 4, v1
	s_clause 0x1
	global_load_b128 v[1:4], v179, s[8:9] offset:800
	global_load_b128 v[5:8], v180, s[8:9] offset:800
	s_wait_loadcnt_dscnt 0x100
	v_mul_f64_e32 v[17:18], v[11:12], v[3:4]
	v_mul_f64_e32 v[3:4], v[9:10], v[3:4]
	s_delay_alu instid0(VALU_DEP_2) | instskip(NEXT) | instid1(VALU_DEP_2)
	v_fma_f64 v[150:151], v[9:10], v[1:2], v[17:18]
	v_fma_f64 v[152:153], v[11:12], v[1:2], -v[3:4]
	ds_load_b128 v[1:4], v120 offset:45056
	ds_load_b128 v[9:12], v120 offset:47104
	s_wait_loadcnt_dscnt 0x1
	v_mul_f64_e32 v[17:18], v[3:4], v[7:8]
	s_delay_alu instid0(VALU_DEP_1) | instskip(SKIP_1) | instid1(VALU_DEP_1)
	v_fma_f64 v[154:155], v[1:2], v[5:6], v[17:18]
	v_mul_f64_e32 v[1:2], v[1:2], v[7:8]
	v_fma_f64 v[156:157], v[3:4], v[5:6], -v[1:2]
	v_and_b32_e32 v1, 0xffff, v41
	s_delay_alu instid0(VALU_DEP_1) | instskip(SKIP_1) | instid1(VALU_DEP_2)
	v_mul_u32_u24_e32 v43, 0x8889, v1
	v_and_b32_e32 v1, 0xffff, v42
	v_lshrrev_b32_e32 v181, 21, v43
	s_delay_alu instid0(VALU_DEP_2) | instskip(NEXT) | instid1(VALU_DEP_2)
	v_mul_u32_u24_e32 v44, 0x8889, v1
	v_mul_lo_u16 v1, v181, 60
	s_delay_alu instid0(VALU_DEP_2) | instskip(NEXT) | instid1(VALU_DEP_2)
	v_lshrrev_b32_e32 v182, 21, v44
	v_sub_nc_u16 v1, v41, v1
	s_delay_alu instid0(VALU_DEP_2) | instskip(NEXT) | instid1(VALU_DEP_2)
	v_mul_lo_u16 v2, v182, 60
	v_and_b32_e32 v1, 0xffff, v1
	s_delay_alu instid0(VALU_DEP_2) | instskip(NEXT) | instid1(VALU_DEP_2)
	v_sub_nc_u16 v2, v42, v2
	v_lshlrev_b32_e32 v183, 4, v1
	s_delay_alu instid0(VALU_DEP_2) | instskip(NEXT) | instid1(VALU_DEP_1)
	v_and_b32_e32 v2, 0xffff, v2
	v_lshlrev_b32_e32 v184, 4, v2
	s_clause 0x1
	global_load_b128 v[1:4], v183, s[8:9] offset:800
	global_load_b128 v[5:8], v184, s[8:9] offset:800
	s_wait_loadcnt_dscnt 0x100
	v_mul_f64_e32 v[17:18], v[11:12], v[3:4]
	v_mul_f64_e32 v[3:4], v[9:10], v[3:4]
	s_delay_alu instid0(VALU_DEP_2) | instskip(NEXT) | instid1(VALU_DEP_2)
	v_fma_f64 v[158:159], v[9:10], v[1:2], v[17:18]
	v_fma_f64 v[160:161], v[11:12], v[1:2], -v[3:4]
	ds_load_b128 v[1:4], v120 offset:49152
	ds_load_b128 v[9:12], v120 offset:51200
	s_wait_loadcnt_dscnt 0x1
	v_mul_f64_e32 v[17:18], v[3:4], v[7:8]
	s_delay_alu instid0(VALU_DEP_1) | instskip(SKIP_1) | instid1(VALU_DEP_1)
	v_fma_f64 v[162:163], v[1:2], v[5:6], v[17:18]
	v_mul_f64_e32 v[1:2], v[1:2], v[7:8]
	v_fma_f64 v[164:165], v[3:4], v[5:6], -v[1:2]
	v_and_b32_e32 v1, 0xffff, v45
	s_delay_alu instid0(VALU_DEP_1) | instskip(SKIP_1) | instid1(VALU_DEP_2)
	v_mul_u32_u24_e32 v47, 0x8889, v1
	v_and_b32_e32 v1, 0xffff, v46
	v_lshrrev_b32_e32 v40, 21, v47
	s_delay_alu instid0(VALU_DEP_2) | instskip(NEXT) | instid1(VALU_DEP_2)
	v_mul_u32_u24_e32 v48, 0x8889, v1
	v_mul_lo_u16 v1, v40, 60
	s_delay_alu instid0(VALU_DEP_2) | instskip(NEXT) | instid1(VALU_DEP_2)
	v_lshrrev_b32_e32 v37, 21, v48
	v_sub_nc_u16 v1, v45, v1
	s_delay_alu instid0(VALU_DEP_2) | instskip(NEXT) | instid1(VALU_DEP_2)
	v_mul_lo_u16 v2, v37, 60
	v_and_b32_e32 v1, 0xffff, v1
	s_delay_alu instid0(VALU_DEP_2) | instskip(NEXT) | instid1(VALU_DEP_2)
	v_sub_nc_u16 v2, v46, v2
	v_lshlrev_b32_e32 v68, 4, v1
	s_delay_alu instid0(VALU_DEP_2) | instskip(NEXT) | instid1(VALU_DEP_1)
	v_and_b32_e32 v2, 0xffff, v2
	;; [unrolled: 37-line block ×3, first 2 shown]
	v_lshlrev_b32_e32 v67, 4, v2
	s_clause 0x1
	global_load_b128 v[1:4], v69, s[8:9] offset:800
	global_load_b128 v[5:8], v67, s[8:9] offset:800
	s_wait_loadcnt_dscnt 0x100
	v_mul_f64_e32 v[21:22], v[11:12], v[3:4]
	v_mul_f64_e32 v[3:4], v[9:10], v[3:4]
	s_delay_alu instid0(VALU_DEP_2) | instskip(NEXT) | instid1(VALU_DEP_2)
	v_fma_f64 v[25:26], v[9:10], v[1:2], v[21:22]
	v_fma_f64 v[27:28], v[11:12], v[1:2], -v[3:4]
	ds_load_b128 v[1:4], v120 offset:57344
	ds_load_b128 v[9:12], v120 offset:59392
	s_wait_loadcnt_dscnt 0x1
	v_mul_f64_e32 v[21:22], v[3:4], v[7:8]
	s_delay_alu instid0(VALU_DEP_1) | instskip(SKIP_1) | instid1(VALU_DEP_1)
	v_fma_f64 v[21:22], v[1:2], v[5:6], v[21:22]
	v_mul_f64_e32 v[1:2], v[1:2], v[7:8]
	v_fma_f64 v[23:24], v[3:4], v[5:6], -v[1:2]
	v_and_b32_e32 v1, 0xffff, v57
	s_delay_alu instid0(VALU_DEP_1) | instskip(NEXT) | instid1(VALU_DEP_1)
	v_mul_u32_u24_e32 v58, 0x8889, v1
	v_lshrrev_b32_e32 v70, 21, v58
	s_delay_alu instid0(VALU_DEP_1) | instskip(NEXT) | instid1(VALU_DEP_1)
	v_mul_lo_u16 v1, v70, 60
	v_sub_nc_u16 v1, v57, v1
	s_delay_alu instid0(VALU_DEP_1) | instskip(NEXT) | instid1(VALU_DEP_1)
	v_and_b32_e32 v1, 0xffff, v1
	v_lshlrev_b32_e32 v71, 4, v1
	global_load_b128 v[1:4], v71, s[8:9] offset:800
	s_wait_loadcnt_dscnt 0x0
	v_mul_f64_e32 v[5:6], v[11:12], v[3:4]
	v_mul_f64_e32 v[3:4], v[9:10], v[3:4]
	s_delay_alu instid0(VALU_DEP_2) | instskip(NEXT) | instid1(VALU_DEP_2)
	v_fma_f64 v[29:30], v[9:10], v[1:2], v[5:6]
	v_fma_f64 v[31:32], v[11:12], v[1:2], -v[3:4]
	ds_load_b128 v[1:4], v120
	ds_load_b128 v[76:79], v120 offset:2048
	s_wait_dscnt 0x1
	v_add_f64_e64 v[80:81], v[1:2], -v[15:16]
	v_add_f64_e64 v[82:83], v[3:4], -v[82:83]
	s_delay_alu instid0(VALU_DEP_2) | instskip(NEXT) | instid1(VALU_DEP_2)
	v_fma_f64 v[84:85], v[1:2], 2.0, -v[80:81]
	v_fma_f64 v[86:87], v[3:4], 2.0, -v[82:83]
	v_and_b32_e32 v1, 0xffff, v13
	s_delay_alu instid0(VALU_DEP_1) | instskip(NEXT) | instid1(VALU_DEP_1)
	v_mul_u32_u24_e32 v1, 0x780, v1
	v_add3_u32 v185, 0, v1, v14
	ds_load_b128 v[88:91], v120 offset:4096
	ds_load_b128 v[92:95], v120 offset:6144
	ds_load_b128 v[96:99], v120 offset:8192
	ds_load_b128 v[100:103], v120 offset:10240
	ds_load_b128 v[104:107], v120 offset:12288
	ds_load_b128 v[124:127], v120 offset:16384
	ds_load_b128 v[128:131], v120 offset:18432
	ds_load_b128 v[132:135], v120 offset:20480
	ds_load_b128 v[13:16], v120 offset:22528
	ds_load_b128 v[9:12], v120 offset:24576
	ds_load_b128 v[5:8], v120 offset:26624
	ds_load_b128 v[1:4], v120 offset:28672
	global_wb scope:SCOPE_SE
	s_wait_dscnt 0x0
	s_barrier_signal -1
	s_barrier_wait -1
	global_inv scope:SCOPE_SE
	ds_store_b128 v185, v[80:83] offset:960
	ds_store_b128 v185, v[84:87]
	v_add_f64_e64 v[80:81], v[76:77], -v[116:117]
	v_add_f64_e64 v[82:83], v[78:79], -v[118:119]
	;; [unrolled: 1-line block ×4, first 2 shown]
	s_delay_alu instid0(VALU_DEP_4) | instskip(NEXT) | instid1(VALU_DEP_4)
	v_fma_f64 v[76:77], v[76:77], 2.0, -v[80:81]
	v_fma_f64 v[78:79], v[78:79], 2.0, -v[82:83]
	ds_store_b128 v35, v[76:79]
	ds_store_b128 v35, v[80:83] offset:960
	v_add_f64_e64 v[76:77], v[88:89], -v[121:122]
	v_add_f64_e64 v[78:79], v[90:91], -v[136:137]
	v_mul_u32_u24_e32 v35, 0x780, v108
	v_fma_f64 v[13:14], v[13:14], 2.0, -v[17:18]
	v_fma_f64 v[15:16], v[15:16], 2.0, -v[19:20]
	s_delay_alu instid0(VALU_DEP_3)
	v_add3_u32 v35, 0, v35, v171
	v_fma_f64 v[80:81], v[88:89], 2.0, -v[76:77]
	v_fma_f64 v[82:83], v[90:91], 2.0, -v[78:79]
	ds_store_b128 v35, v[80:83]
	ds_store_b128 v35, v[76:79] offset:960
	v_add_f64_e64 v[76:77], v[92:93], -v[138:139]
	v_add_f64_e64 v[78:79], v[94:95], -v[140:141]
	v_mul_u32_u24_e32 v35, 0x780, v170
	s_delay_alu instid0(VALU_DEP_1)
	v_add3_u32 v35, 0, v35, v172
	v_lshrrev_b32_e32 v172, 22, v62
	v_fma_f64 v[80:81], v[92:93], 2.0, -v[76:77]
	v_fma_f64 v[82:83], v[94:95], 2.0, -v[78:79]
	ds_store_b128 v35, v[80:83]
	ds_store_b128 v35, v[76:79] offset:960
	v_add_f64_e64 v[76:77], v[96:97], -v[142:143]
	v_add_f64_e64 v[78:79], v[98:99], -v[144:145]
	v_mul_u32_u24_e32 v35, 0x780, v173
	v_lshrrev_b32_e32 v173, 22, v63
	s_delay_alu instid0(VALU_DEP_2)
	v_add3_u32 v35, 0, v35, v175
	v_fma_f64 v[80:81], v[96:97], 2.0, -v[76:77]
	v_fma_f64 v[82:83], v[98:99], 2.0, -v[78:79]
	ds_store_b128 v35, v[80:83]
	ds_store_b128 v35, v[76:79] offset:960
	v_add_f64_e64 v[76:77], v[100:101], -v[146:147]
	v_add_f64_e64 v[78:79], v[102:103], -v[148:149]
	v_mul_u32_u24_e32 v35, 0x780, v174
	s_delay_alu instid0(VALU_DEP_1)
	v_add3_u32 v35, 0, v35, v176
	v_lshrrev_b32_e32 v176, 22, v65
	v_fma_f64 v[80:81], v[100:101], 2.0, -v[76:77]
	v_fma_f64 v[82:83], v[102:103], 2.0, -v[78:79]
	ds_store_b128 v35, v[80:83]
	ds_store_b128 v35, v[76:79] offset:960
	v_add_f64_e64 v[76:77], v[104:105], -v[150:151]
	v_add_f64_e64 v[78:79], v[106:107], -v[152:153]
	v_mul_u32_u24_e32 v35, 0x780, v177
	v_lshrrev_b32_e32 v177, 17, v51
	s_delay_alu instid0(VALU_DEP_2)
	v_add3_u32 v35, 0, v35, v179
	v_fma_f64 v[80:81], v[104:105], 2.0, -v[76:77]
	v_fma_f64 v[82:83], v[106:107], 2.0, -v[78:79]
	ds_store_b128 v35, v[80:83]
	ds_store_b128 v35, v[76:79] offset:960
	v_add_f64_e64 v[76:77], v[72:73], -v[154:155]
	v_add_f64_e64 v[78:79], v[74:75], -v[156:157]
	v_mul_u32_u24_e32 v35, 0x780, v178
	s_delay_alu instid0(VALU_DEP_1)
	v_add3_u32 v35, 0, v35, v180
	v_lshrrev_b32_e32 v180, 22, v43
	v_fma_f64 v[72:73], v[72:73], 2.0, -v[76:77]
	v_fma_f64 v[74:75], v[74:75], 2.0, -v[78:79]
	ds_store_b128 v35, v[72:75]
	ds_store_b128 v35, v[76:79] offset:960
	v_add_f64_e64 v[72:73], v[124:125], -v[158:159]
	v_add_f64_e64 v[74:75], v[126:127], -v[160:161]
	v_mul_u32_u24_e32 v35, 0x780, v181
	s_delay_alu instid0(VALU_DEP_1) | instskip(NEXT) | instid1(VALU_DEP_4)
	v_add3_u32 v35, 0, v35, v183
	v_fma_f64 v[76:77], v[124:125], 2.0, -v[72:73]
	s_delay_alu instid0(VALU_DEP_4)
	v_fma_f64 v[78:79], v[126:127], 2.0, -v[74:75]
	ds_store_b128 v35, v[76:79]
	ds_store_b128 v35, v[72:75] offset:960
	v_add_f64_e64 v[72:73], v[128:129], -v[162:163]
	v_add_f64_e64 v[74:75], v[130:131], -v[164:165]
	v_mul_u32_u24_e32 v35, 0x780, v182
	s_delay_alu instid0(VALU_DEP_1) | instskip(NEXT) | instid1(VALU_DEP_4)
	v_add3_u32 v35, 0, v35, v184
	v_fma_f64 v[76:77], v[128:129], 2.0, -v[72:73]
	s_delay_alu instid0(VALU_DEP_4)
	v_fma_f64 v[78:79], v[130:131], 2.0, -v[74:75]
	ds_store_b128 v35, v[76:79]
	ds_store_b128 v35, v[72:75] offset:960
	v_add_f64_e64 v[72:73], v[132:133], -v[166:167]
	v_add_f64_e64 v[74:75], v[134:135], -v[168:169]
	v_mul_u32_u24_e32 v35, 0x780, v40
	v_lshrrev_b32_e32 v168, 22, v34
	v_lshrrev_b32_e32 v169, 22, v60
	s_delay_alu instid0(VALU_DEP_3)
	v_add3_u32 v35, 0, v35, v68
	v_lshrrev_b32_e32 v68, 22, v44
	v_fma_f64 v[76:77], v[132:133], 2.0, -v[72:73]
	v_fma_f64 v[78:79], v[134:135], 2.0, -v[74:75]
	ds_store_b128 v35, v[76:79]
	ds_store_b128 v35, v[72:75] offset:960
	v_mul_u32_u24_e32 v35, 0x780, v37
	v_lshrrev_b32_e32 v73, 22, v52
	v_lshrrev_b32_e32 v76, 22, v58
	s_delay_alu instid0(VALU_DEP_3)
	v_add3_u32 v35, 0, v35, v38
	ds_store_b128 v35, v[13:16]
	ds_store_b128 v35, v[17:20] offset:960
	v_add_f64_e64 v[13:14], v[9:10], -v[25:26]
	v_add_f64_e64 v[15:16], v[11:12], -v[27:28]
	v_mul_u32_u24_e32 v17, 0x780, v66
	v_lshrrev_b16 v66, 14, v33
	s_delay_alu instid0(VALU_DEP_2)
	v_add3_u32 v17, 0, v17, v69
	v_lshrrev_b32_e32 v69, 22, v47
	v_fma_f64 v[9:10], v[9:10], 2.0, -v[13:14]
	v_fma_f64 v[11:12], v[11:12], 2.0, -v[15:16]
	ds_store_b128 v17, v[9:12]
	ds_store_b128 v17, v[13:16] offset:960
	v_add_f64_e64 v[9:10], v[5:6], -v[21:22]
	v_add_f64_e64 v[11:12], v[7:8], -v[23:24]
	v_mul_u32_u24_e32 v13, 0x780, v39
	s_delay_alu instid0(VALU_DEP_1) | instskip(NEXT) | instid1(VALU_DEP_4)
	v_add3_u32 v13, 0, v13, v67
	v_fma_f64 v[5:6], v[5:6], 2.0, -v[9:10]
	s_delay_alu instid0(VALU_DEP_4)
	v_fma_f64 v[7:8], v[7:8], 2.0, -v[11:12]
	ds_store_b128 v13, v[5:8]
	ds_store_b128 v13, v[9:12] offset:960
	v_add_f64_e64 v[5:6], v[1:2], -v[29:30]
	v_add_f64_e64 v[7:8], v[3:4], -v[31:32]
	v_mul_u32_u24_e32 v9, 0x780, v70
	s_delay_alu instid0(VALU_DEP_1)
	v_add3_u32 v9, 0, v9, v71
	v_lshrrev_b32_e32 v71, 22, v56
	v_fma_f64 v[1:2], v[1:2], 2.0, -v[5:6]
	v_fma_f64 v[3:4], v[3:4], 2.0, -v[7:8]
	ds_store_b128 v9, v[1:4]
	ds_store_b128 v9, v[5:8] offset:960
	v_add_nc_u32_e32 v1, 0xffffff88, v111
	v_mul_lo_u16 v4, 0x78, v66
	v_mov_b32_e32 v2, v112
	global_wb scope:SCOPE_SE
	s_wait_dscnt 0x0
	s_barrier_signal -1
	s_wait_alu 0xf1ff
	v_cndmask_b32_e64 v1, v1, v111, s0
	v_sub_nc_u16 v4, v54, v4
	s_barrier_wait -1
	global_inv scope:SCOPE_SE
	v_and_b32_e32 v66, 0xffff, v66
	v_lshlrev_b64_e32 v[2:3], 4, v[1:2]
	v_and_b32_e32 v4, 0xff, v4
	v_lshlrev_b32_e32 v1, 4, v1
	s_delay_alu instid0(VALU_DEP_4) | instskip(NEXT) | instid1(VALU_DEP_4)
	v_mul_u32_u24_e32 v66, 0xf00, v66
	v_add_co_u32 v2, s0, s8, v2
	s_wait_alu 0xf1ff
	v_add_co_ci_u32_e64 v3, s0, s9, v3, s0
	v_lshlrev_b32_e32 v67, 4, v4
	s_clause 0x1
	global_load_b128 v[2:5], v[2:3], off offset:1760
	global_load_b128 v[6:9], v67, s[8:9] offset:1760
	ds_load_b128 v[10:13], v120 offset:30720
	ds_load_b128 v[79:82], v123
	v_cmp_lt_u32_e64 s0, 0x77, v111
	v_add3_u32 v66, 0, v66, v67
	s_wait_loadcnt_dscnt 0x101
	v_mul_f64_e32 v[14:15], v[12:13], v[4:5]
	v_mul_f64_e32 v[4:5], v[10:11], v[4:5]
	s_delay_alu instid0(VALU_DEP_2) | instskip(NEXT) | instid1(VALU_DEP_2)
	v_fma_f64 v[14:15], v[10:11], v[2:3], v[14:15]
	v_fma_f64 v[16:17], v[12:13], v[2:3], -v[4:5]
	ds_load_b128 v[2:5], v120 offset:32768
	ds_load_b128 v[10:13], v120 offset:34816
	s_wait_loadcnt_dscnt 0x1
	v_mul_f64_e32 v[18:19], v[4:5], v[8:9]
	s_delay_alu instid0(VALU_DEP_1) | instskip(SKIP_1) | instid1(VALU_DEP_1)
	v_fma_f64 v[107:108], v[2:3], v[6:7], v[18:19]
	v_mul_f64_e32 v[2:3], v[2:3], v[8:9]
	v_fma_f64 v[116:117], v[4:5], v[6:7], -v[2:3]
	v_mul_lo_u16 v2, 0x78, v168
	v_mul_lo_u16 v3, 0x78, v169
	s_delay_alu instid0(VALU_DEP_2) | instskip(NEXT) | instid1(VALU_DEP_2)
	v_sub_nc_u16 v2, v59, v2
	v_sub_nc_u16 v3, v53, v3
	v_lshrrev_b32_e32 v59, 22, v48
	s_delay_alu instid0(VALU_DEP_3) | instskip(NEXT) | instid1(VALU_DEP_3)
	v_and_b32_e32 v2, 0xffff, v2
	v_and_b32_e32 v3, 0xffff, v3
	s_delay_alu instid0(VALU_DEP_2) | instskip(NEXT) | instid1(VALU_DEP_2)
	v_lshlrev_b32_e32 v170, 4, v2
	v_lshlrev_b32_e32 v171, 4, v3
	s_clause 0x1
	global_load_b128 v[2:5], v170, s[8:9] offset:1760
	global_load_b128 v[6:9], v171, s[8:9] offset:1760
	s_wait_loadcnt_dscnt 0x100
	v_mul_f64_e32 v[18:19], v[12:13], v[4:5]
	v_mul_f64_e32 v[4:5], v[10:11], v[4:5]
	s_delay_alu instid0(VALU_DEP_2) | instskip(NEXT) | instid1(VALU_DEP_2)
	v_fma_f64 v[118:119], v[10:11], v[2:3], v[18:19]
	v_fma_f64 v[121:122], v[12:13], v[2:3], -v[4:5]
	ds_load_b128 v[2:5], v120 offset:36864
	ds_load_b128 v[10:13], v120 offset:38912
	s_wait_loadcnt_dscnt 0x1
	v_mul_f64_e32 v[18:19], v[4:5], v[8:9]
	s_delay_alu instid0(VALU_DEP_1) | instskip(SKIP_1) | instid1(VALU_DEP_1)
	v_fma_f64 v[140:141], v[2:3], v[6:7], v[18:19]
	v_mul_f64_e32 v[2:3], v[2:3], v[8:9]
	v_fma_f64 v[142:143], v[4:5], v[6:7], -v[2:3]
	v_mul_lo_u16 v2, 0x78, v172
	v_mul_lo_u16 v3, 0x78, v173
	s_delay_alu instid0(VALU_DEP_2) | instskip(NEXT) | instid1(VALU_DEP_2)
	v_sub_nc_u16 v2, v55, v2
	v_sub_nc_u16 v3, v61, v3
	s_delay_alu instid0(VALU_DEP_2) | instskip(NEXT) | instid1(VALU_DEP_2)
	v_and_b32_e32 v2, 0xffff, v2
	v_and_b32_e32 v3, 0xffff, v3
	s_delay_alu instid0(VALU_DEP_2) | instskip(NEXT) | instid1(VALU_DEP_2)
	v_lshlrev_b32_e32 v174, 4, v2
	v_lshlrev_b32_e32 v175, 4, v3
	s_clause 0x1
	global_load_b128 v[2:5], v174, s[8:9] offset:1760
	global_load_b128 v[6:9], v175, s[8:9] offset:1760
	s_wait_loadcnt_dscnt 0x100
	v_mul_f64_e32 v[18:19], v[12:13], v[4:5]
	v_mul_f64_e32 v[4:5], v[10:11], v[4:5]
	s_delay_alu instid0(VALU_DEP_2) | instskip(NEXT) | instid1(VALU_DEP_2)
	v_fma_f64 v[144:145], v[10:11], v[2:3], v[18:19]
	v_fma_f64 v[146:147], v[12:13], v[2:3], -v[4:5]
	ds_load_b128 v[2:5], v120 offset:40960
	ds_load_b128 v[10:13], v120 offset:43008
	s_wait_loadcnt_dscnt 0x1
	v_mul_f64_e32 v[18:19], v[4:5], v[8:9]
	s_delay_alu instid0(VALU_DEP_1) | instskip(SKIP_1) | instid1(VALU_DEP_1)
	v_fma_f64 v[148:149], v[2:3], v[6:7], v[18:19]
	v_mul_f64_e32 v[2:3], v[2:3], v[8:9]
	v_fma_f64 v[150:151], v[4:5], v[6:7], -v[2:3]
	v_mul_lo_u16 v2, 0x78, v176
	v_mul_lo_u16 v3, 0x78, v177
	s_delay_alu instid0(VALU_DEP_2) | instskip(NEXT) | instid1(VALU_DEP_2)
	v_sub_nc_u16 v2, v64, v2
	v_sub_nc_u16 v3, v186, v3
	s_delay_alu instid0(VALU_DEP_2) | instskip(NEXT) | instid1(VALU_DEP_2)
	;; [unrolled: 28-line block ×5, first 2 shown]
	v_and_b32_e32 v2, 0xffff, v2
	v_and_b32_e32 v3, 0xffff, v3
	s_delay_alu instid0(VALU_DEP_2) | instskip(NEXT) | instid1(VALU_DEP_2)
	v_lshlrev_b32_e32 v77, 4, v2
	v_lshlrev_b32_e32 v74, 4, v3
	s_clause 0x1
	global_load_b128 v[2:5], v77, s[8:9] offset:1760
	global_load_b128 v[6:9], v74, s[8:9] offset:1760
	s_wait_loadcnt_dscnt 0x100
	v_mul_f64_e32 v[18:19], v[12:13], v[4:5]
	v_mul_f64_e32 v[4:5], v[10:11], v[4:5]
	s_delay_alu instid0(VALU_DEP_2) | instskip(NEXT) | instid1(VALU_DEP_2)
	v_fma_f64 v[33:34], v[10:11], v[2:3], v[18:19]
	v_fma_f64 v[37:38], v[12:13], v[2:3], -v[4:5]
	ds_load_b128 v[2:5], v120 offset:57344
	ds_load_b128 v[10:13], v120 offset:59392
	s_wait_loadcnt_dscnt 0x1
	v_mul_f64_e32 v[18:19], v[4:5], v[8:9]
	s_delay_alu instid0(VALU_DEP_1) | instskip(SKIP_1) | instid1(VALU_DEP_1)
	v_fma_f64 v[29:30], v[2:3], v[6:7], v[18:19]
	v_mul_f64_e32 v[2:3], v[2:3], v[8:9]
	v_fma_f64 v[31:32], v[4:5], v[6:7], -v[2:3]
	v_mul_lo_u16 v2, 0x78, v76
	s_delay_alu instid0(VALU_DEP_1) | instskip(NEXT) | instid1(VALU_DEP_1)
	v_sub_nc_u16 v2, v57, v2
	v_and_b32_e32 v2, 0xffff, v2
	s_delay_alu instid0(VALU_DEP_1) | instskip(SKIP_4) | instid1(VALU_DEP_2)
	v_lshlrev_b32_e32 v78, 4, v2
	global_load_b128 v[2:5], v78, s[8:9] offset:1760
	s_wait_loadcnt_dscnt 0x0
	v_mul_f64_e32 v[6:7], v[12:13], v[4:5]
	v_mul_f64_e32 v[4:5], v[10:11], v[4:5]
	v_fma_f64 v[35:36], v[10:11], v[2:3], v[6:7]
	s_delay_alu instid0(VALU_DEP_2)
	v_fma_f64 v[39:40], v[12:13], v[2:3], -v[4:5]
	ds_load_b128 v[2:5], v120
	ds_load_b128 v[83:86], v120 offset:2048
	s_wait_dscnt 0x1
	v_add_f64_e64 v[87:88], v[2:3], -v[14:15]
	v_add_f64_e64 v[89:90], v[4:5], -v[16:17]
	s_delay_alu instid0(VALU_DEP_2) | instskip(NEXT) | instid1(VALU_DEP_2)
	v_fma_f64 v[91:92], v[2:3], 2.0, -v[87:88]
	v_fma_f64 v[93:94], v[4:5], 2.0, -v[89:90]
	s_wait_alu 0xf1ff
	v_cndmask_b32_e64 v2, 0, 0xf00, s0
	v_cmp_gt_u32_e64 s0, 0xf0, v54
	s_delay_alu instid0(VALU_DEP_2)
	v_add3_u32 v182, 0, v2, v1
	ds_load_b128 v[95:98], v120 offset:4096
	ds_load_b128 v[99:102], v120 offset:6144
	;; [unrolled: 1-line block ×12, first 2 shown]
	global_wb scope:SCOPE_SE
	s_wait_dscnt 0x0
	s_barrier_signal -1
	s_barrier_wait -1
	global_inv scope:SCOPE_SE
	ds_store_b128 v182, v[87:90] offset:1920
	ds_store_b128 v182, v[91:94]
	v_add_f64_e64 v[87:88], v[83:84], -v[107:108]
	v_add_f64_e64 v[89:90], v[85:86], -v[116:117]
	;; [unrolled: 1-line block ×4, first 2 shown]
	s_delay_alu instid0(VALU_DEP_4) | instskip(NEXT) | instid1(VALU_DEP_4)
	v_fma_f64 v[83:84], v[83:84], 2.0, -v[87:88]
	v_fma_f64 v[85:86], v[85:86], 2.0, -v[89:90]
	ds_store_b128 v66, v[83:86]
	ds_store_b128 v66, v[87:90] offset:1920
	v_add_f64_e64 v[83:84], v[95:96], -v[118:119]
	v_add_f64_e64 v[85:86], v[97:98], -v[121:122]
	v_mul_u32_u24_e32 v66, 0xf00, v168
	v_fma_f64 v[17:18], v[17:18], 2.0, -v[25:26]
	v_fma_f64 v[19:20], v[19:20], 2.0, -v[27:28]
	s_delay_alu instid0(VALU_DEP_3)
	v_add3_u32 v66, 0, v66, v170
	v_fma_f64 v[87:88], v[95:96], 2.0, -v[83:84]
	v_fma_f64 v[89:90], v[97:98], 2.0, -v[85:86]
	ds_store_b128 v66, v[87:90]
	ds_store_b128 v66, v[83:86] offset:1920
	v_add_f64_e64 v[83:84], v[99:100], -v[140:141]
	v_add_f64_e64 v[85:86], v[101:102], -v[142:143]
	v_mul_u32_u24_e32 v66, 0xf00, v169
	s_delay_alu instid0(VALU_DEP_1) | instskip(NEXT) | instid1(VALU_DEP_4)
	v_add3_u32 v66, 0, v66, v171
	v_fma_f64 v[87:88], v[99:100], 2.0, -v[83:84]
	s_delay_alu instid0(VALU_DEP_4)
	v_fma_f64 v[89:90], v[101:102], 2.0, -v[85:86]
	ds_store_b128 v66, v[87:90]
	ds_store_b128 v66, v[83:86] offset:1920
	v_add_f64_e64 v[83:84], v[103:104], -v[144:145]
	v_add_f64_e64 v[85:86], v[105:106], -v[146:147]
	v_mul_u32_u24_e32 v66, 0xf00, v172
	s_delay_alu instid0(VALU_DEP_1) | instskip(NEXT) | instid1(VALU_DEP_4)
	v_add3_u32 v66, 0, v66, v174
	v_fma_f64 v[87:88], v[103:104], 2.0, -v[83:84]
	s_delay_alu instid0(VALU_DEP_4)
	;; [unrolled: 10-line block ×4, first 2 shown]
	v_fma_f64 v[89:90], v[130:131], 2.0, -v[85:86]
	ds_store_b128 v66, v[87:90]
	ds_store_b128 v66, v[83:86] offset:1920
	v_add_f64_e64 v[83:84], v[79:80], -v[156:157]
	v_add_f64_e64 v[85:86], v[81:82], -v[158:159]
	v_mul_u32_u24_e32 v66, 0xf00, v177
	v_lshrrev_b32_e32 v157, 18, v51
	s_delay_alu instid0(VALU_DEP_2)
	v_add3_u32 v66, 0, v66, v179
	v_fma_f64 v[79:80], v[79:80], 2.0, -v[83:84]
	v_fma_f64 v[81:82], v[81:82], 2.0, -v[85:86]
	ds_store_b128 v66, v[79:82]
	ds_store_b128 v66, v[83:86] offset:1920
	v_add_f64_e64 v[79:80], v[132:133], -v[160:161]
	v_add_f64_e64 v[81:82], v[134:135], -v[162:163]
	v_mul_u32_u24_e32 v66, 0xf00, v180
	v_lshrrev_b32_e32 v160, 23, v44
	v_lshrrev_b32_e32 v163, 23, v48
	s_delay_alu instid0(VALU_DEP_3)
	v_add3_u32 v66, 0, v66, v181
	v_fma_f64 v[83:84], v[132:133], 2.0, -v[79:80]
	v_fma_f64 v[85:86], v[134:135], 2.0, -v[81:82]
	ds_store_b128 v66, v[83:86]
	ds_store_b128 v66, v[79:82] offset:1920
	v_add_f64_e64 v[79:80], v[136:137], -v[164:165]
	v_add_f64_e64 v[81:82], v[138:139], -v[166:167]
	v_mul_u32_u24_e32 v66, 0xf00, v68
	v_lshrrev_b32_e32 v166, 23, v56
	s_delay_alu instid0(VALU_DEP_2)
	v_add3_u32 v66, 0, v66, v72
	v_fma_f64 v[83:84], v[136:137], 2.0, -v[79:80]
	v_fma_f64 v[85:86], v[138:139], 2.0, -v[81:82]
	ds_store_b128 v66, v[83:86]
	ds_store_b128 v66, v[79:82] offset:1920
	v_mul_u32_u24_e32 v66, 0xf00, v69
	s_delay_alu instid0(VALU_DEP_1)
	v_add3_u32 v66, 0, v66, v75
	ds_store_b128 v66, v[17:20]
	ds_store_b128 v66, v[25:28] offset:1920
	v_add_f64_e64 v[17:18], v[13:14], -v[21:22]
	v_add_f64_e64 v[19:20], v[15:16], -v[23:24]
	v_mul_u32_u24_e32 v21, 0xf00, v59
	s_delay_alu instid0(VALU_DEP_1) | instskip(NEXT) | instid1(VALU_DEP_4)
	v_add3_u32 v21, 0, v21, v70
	v_fma_f64 v[13:14], v[13:14], 2.0, -v[17:18]
	s_delay_alu instid0(VALU_DEP_4)
	v_fma_f64 v[15:16], v[15:16], 2.0, -v[19:20]
	ds_store_b128 v21, v[13:16]
	ds_store_b128 v21, v[17:20] offset:1920
	v_add_f64_e64 v[13:14], v[9:10], -v[33:34]
	v_add_f64_e64 v[15:16], v[11:12], -v[37:38]
	v_mul_u32_u24_e32 v17, 0xf00, v73
	s_delay_alu instid0(VALU_DEP_1) | instskip(NEXT) | instid1(VALU_DEP_4)
	v_add3_u32 v17, 0, v17, v77
	v_fma_f64 v[9:10], v[9:10], 2.0, -v[13:14]
	s_delay_alu instid0(VALU_DEP_4)
	v_fma_f64 v[11:12], v[11:12], 2.0, -v[15:16]
	;; [unrolled: 10-line block ×3, first 2 shown]
	ds_store_b128 v13, v[5:8]
	ds_store_b128 v13, v[9:12] offset:1920
	v_add_f64_e64 v[7:8], v[1:2], -v[35:36]
	v_add_f64_e64 v[9:10], v[3:4], -v[39:40]
	v_mul_u32_u24_e32 v5, 0xf00, v76
	v_mov_b32_e32 v6, v112
	v_lshrrev_b32_e32 v40, 23, v60
	s_delay_alu instid0(VALU_DEP_3)
	v_add3_u32 v11, 0, v5, v78
	v_fma_f64 v[1:2], v[1:2], 2.0, -v[7:8]
	v_fma_f64 v[3:4], v[3:4], 2.0, -v[9:10]
	ds_store_b128 v11, v[7:10] offset:1920
	ds_store_b128 v11, v[1:4]
	scratch_load_b64 v[3:4], off, off offset:4 th:TH_LOAD_LU ; 8-byte Folded Reload
	v_add_nc_u32_e32 v1, 0xffffff90, v111
	global_wb scope:SCOPE_SE
	s_wait_loadcnt_dscnt 0x0
	s_barrier_signal -1
	s_barrier_wait -1
	global_inv scope:SCOPE_SE
	s_wait_alu 0xf1ff
	v_cndmask_b32_e64 v5, v1, v54, s0
	s_delay_alu instid0(VALU_DEP_1) | instskip(SKIP_4) | instid1(VALU_DEP_4)
	v_lshlrev_b64_e32 v[1:2], 4, v[5:6]
	v_lshlrev_b32_e32 v5, 4, v5
	v_add_co_u32 v3, s0, s8, v3
	s_wait_alu 0xf1ff
	v_add_co_ci_u32_e64 v4, s0, s9, v4, s0
	v_add_co_u32 v1, s0, s8, v1
	s_wait_alu 0xf1ff
	v_add_co_ci_u32_e64 v2, s0, s9, v2, s0
	s_clause 0x1
	global_load_b128 v[6:9], v[3:4], off offset:3680
	global_load_b128 v[10:13], v[1:2], off offset:3680
	ds_load_b128 v[14:17], v120 offset:30720
	ds_load_b128 v[18:21], v123
	s_wait_loadcnt_dscnt 0x101
	v_mul_f64_e32 v[1:2], v[16:17], v[8:9]
	s_delay_alu instid0(VALU_DEP_1) | instskip(SKIP_1) | instid1(VALU_DEP_1)
	v_fma_f64 v[22:23], v[14:15], v[6:7], v[1:2]
	v_mul_f64_e32 v[1:2], v[14:15], v[8:9]
	v_fma_f64 v[24:25], v[16:17], v[6:7], -v[1:2]
	ds_load_b128 v[6:9], v120 offset:32768
	ds_load_b128 v[14:17], v120 offset:34816
	s_wait_loadcnt_dscnt 0x1
	v_mul_f64_e32 v[1:2], v[8:9], v[12:13]
	s_delay_alu instid0(VALU_DEP_1) | instskip(SKIP_2) | instid1(VALU_DEP_1)
	v_fma_f64 v[26:27], v[6:7], v[10:11], v[1:2]
	v_mul_f64_e32 v[1:2], v[6:7], v[12:13]
	v_mul_lo_u16 v6, 0xf0, v40
	v_sub_nc_u16 v6, v53, v6
	s_delay_alu instid0(VALU_DEP_1) | instskip(NEXT) | instid1(VALU_DEP_1)
	v_and_b32_e32 v6, 0xffff, v6
	v_lshlrev_b32_e32 v154, 4, v6
	v_fma_f64 v[28:29], v[8:9], v[10:11], -v[1:2]
	v_lshlrev_b64_e32 v[1:2], 4, v[111:112]
	s_delay_alu instid0(VALU_DEP_1) | instskip(SKIP_1) | instid1(VALU_DEP_2)
	v_add_co_u32 v1, s0, s8, v1
	s_wait_alu 0xf1ff
	v_add_co_ci_u32_e64 v2, s0, s9, v2, s0
	s_clause 0x1
	global_load_b128 v[6:9], v[1:2], off offset:3936
	global_load_b128 v[10:13], v154, s[8:9] offset:3680
	v_cmp_lt_u32_e64 s0, 0xef, v54
	s_wait_loadcnt_dscnt 0x100
	v_mul_f64_e32 v[30:31], v[16:17], v[8:9]
	v_mul_f64_e32 v[8:9], v[14:15], v[8:9]
	s_delay_alu instid0(VALU_DEP_2) | instskip(NEXT) | instid1(VALU_DEP_2)
	v_fma_f64 v[38:39], v[14:15], v[6:7], v[30:31]
	v_fma_f64 v[95:96], v[16:17], v[6:7], -v[8:9]
	ds_load_b128 v[6:9], v120 offset:36864
	ds_load_b128 v[14:17], v120 offset:38912
	s_wait_loadcnt_dscnt 0x1
	v_mul_f64_e32 v[30:31], v[8:9], v[12:13]
	s_delay_alu instid0(VALU_DEP_1) | instskip(SKIP_1) | instid1(VALU_DEP_1)
	v_fma_f64 v[97:98], v[6:7], v[10:11], v[30:31]
	v_mul_f64_e32 v[6:7], v[6:7], v[12:13]
	v_fma_f64 v[99:100], v[8:9], v[10:11], -v[6:7]
	v_lshrrev_b32_e32 v6, 23, v62
	s_delay_alu instid0(VALU_DEP_1) | instskip(NEXT) | instid1(VALU_DEP_1)
	v_mul_lo_u16 v6, 0xf0, v6
	v_sub_nc_u16 v6, v55, v6
	v_lshrrev_b32_e32 v55, 23, v63
	s_delay_alu instid0(VALU_DEP_2) | instskip(NEXT) | instid1(VALU_DEP_2)
	v_and_b32_e32 v6, 0xffff, v6
	v_mul_lo_u16 v7, 0xf0, v55
	s_delay_alu instid0(VALU_DEP_2) | instskip(NEXT) | instid1(VALU_DEP_2)
	v_lshlrev_b32_e32 v155, 4, v6
	v_sub_nc_u16 v7, v61, v7
	s_delay_alu instid0(VALU_DEP_1) | instskip(NEXT) | instid1(VALU_DEP_1)
	v_and_b32_e32 v7, 0xffff, v7
	v_lshlrev_b32_e32 v156, 4, v7
	s_clause 0x1
	global_load_b128 v[6:9], v155, s[8:9] offset:3680
	global_load_b128 v[10:13], v156, s[8:9] offset:3680
	s_wait_loadcnt_dscnt 0x100
	v_mul_f64_e32 v[30:31], v[16:17], v[8:9]
	v_mul_f64_e32 v[8:9], v[14:15], v[8:9]
	s_delay_alu instid0(VALU_DEP_2) | instskip(NEXT) | instid1(VALU_DEP_2)
	v_fma_f64 v[101:102], v[14:15], v[6:7], v[30:31]
	v_fma_f64 v[103:104], v[16:17], v[6:7], -v[8:9]
	ds_load_b128 v[6:9], v120 offset:40960
	ds_load_b128 v[14:17], v120 offset:43008
	s_wait_loadcnt_dscnt 0x1
	v_mul_f64_e32 v[30:31], v[8:9], v[12:13]
	s_delay_alu instid0(VALU_DEP_1) | instskip(SKIP_1) | instid1(VALU_DEP_1)
	v_fma_f64 v[105:106], v[6:7], v[10:11], v[30:31]
	v_mul_f64_e32 v[6:7], v[6:7], v[12:13]
	v_fma_f64 v[107:108], v[8:9], v[10:11], -v[6:7]
	v_lshrrev_b32_e32 v6, 23, v65
	v_mul_lo_u16 v7, 0xf0, v157
	s_delay_alu instid0(VALU_DEP_2) | instskip(NEXT) | instid1(VALU_DEP_2)
	v_mul_lo_u16 v6, 0xf0, v6
	v_sub_nc_u16 v7, v186, v7
	s_delay_alu instid0(VALU_DEP_2) | instskip(NEXT) | instid1(VALU_DEP_2)
	v_sub_nc_u16 v6, v64, v6
	v_and_b32_e32 v7, 0xffff, v7
	s_delay_alu instid0(VALU_DEP_2) | instskip(NEXT) | instid1(VALU_DEP_2)
	v_and_b32_e32 v6, 0xffff, v6
	v_lshlrev_b32_e32 v159, 4, v7
	s_delay_alu instid0(VALU_DEP_2)
	v_lshlrev_b32_e32 v158, 4, v6
	s_clause 0x1
	global_load_b128 v[6:9], v158, s[8:9] offset:3680
	global_load_b128 v[10:13], v159, s[8:9] offset:3680
	s_wait_loadcnt_dscnt 0x100
	v_mul_f64_e32 v[30:31], v[16:17], v[8:9]
	v_mul_f64_e32 v[8:9], v[14:15], v[8:9]
	s_delay_alu instid0(VALU_DEP_2) | instskip(NEXT) | instid1(VALU_DEP_2)
	v_fma_f64 v[116:117], v[14:15], v[6:7], v[30:31]
	v_fma_f64 v[118:119], v[16:17], v[6:7], -v[8:9]
	ds_load_b128 v[6:9], v120 offset:45056
	ds_load_b128 v[14:17], v120 offset:47104
	s_wait_loadcnt_dscnt 0x1
	v_mul_f64_e32 v[30:31], v[8:9], v[12:13]
	s_delay_alu instid0(VALU_DEP_1) | instskip(SKIP_1) | instid1(VALU_DEP_1)
	v_fma_f64 v[121:122], v[6:7], v[10:11], v[30:31]
	v_mul_f64_e32 v[6:7], v[6:7], v[12:13]
	v_fma_f64 v[124:125], v[8:9], v[10:11], -v[6:7]
	v_lshrrev_b32_e32 v6, 23, v43
	v_mul_lo_u16 v7, 0xf0, v160
	s_delay_alu instid0(VALU_DEP_2) | instskip(NEXT) | instid1(VALU_DEP_2)
	v_mul_lo_u16 v6, 0xf0, v6
	v_sub_nc_u16 v7, v42, v7
	s_delay_alu instid0(VALU_DEP_2) | instskip(NEXT) | instid1(VALU_DEP_2)
	v_sub_nc_u16 v6, v41, v6
	v_and_b32_e32 v7, 0xffff, v7
	s_delay_alu instid0(VALU_DEP_2) | instskip(NEXT) | instid1(VALU_DEP_2)
	v_and_b32_e32 v6, 0xffff, v6
	v_lshlrev_b32_e32 v162, 4, v7
	s_delay_alu instid0(VALU_DEP_2)
	;; [unrolled: 30-line block ×4, first 2 shown]
	v_lshlrev_b32_e32 v167, 4, v6
	s_clause 0x1
	global_load_b128 v[6:9], v167, s[8:9] offset:3680
	global_load_b128 v[10:13], v168, s[8:9] offset:3680
	s_wait_loadcnt_dscnt 0x100
	v_mul_f64_e32 v[30:31], v[16:17], v[8:9]
	v_mul_f64_e32 v[8:9], v[14:15], v[8:9]
	s_delay_alu instid0(VALU_DEP_2) | instskip(NEXT) | instid1(VALU_DEP_2)
	v_fma_f64 v[142:143], v[14:15], v[6:7], v[30:31]
	v_fma_f64 v[144:145], v[16:17], v[6:7], -v[8:9]
	ds_load_b128 v[6:9], v120 offset:57344
	ds_load_b128 v[14:17], v120 offset:59392
	s_wait_loadcnt_dscnt 0x1
	v_mul_f64_e32 v[30:31], v[8:9], v[12:13]
	s_delay_alu instid0(VALU_DEP_1) | instskip(SKIP_1) | instid1(VALU_DEP_1)
	v_fma_f64 v[146:147], v[6:7], v[10:11], v[30:31]
	v_mul_f64_e32 v[6:7], v[6:7], v[12:13]
	v_fma_f64 v[148:149], v[8:9], v[10:11], -v[6:7]
	v_lshrrev_b32_e32 v6, 23, v58
	s_delay_alu instid0(VALU_DEP_1) | instskip(NEXT) | instid1(VALU_DEP_1)
	v_mul_lo_u16 v6, 0xf0, v6
	v_sub_nc_u16 v6, v57, v6
	s_delay_alu instid0(VALU_DEP_1) | instskip(NEXT) | instid1(VALU_DEP_1)
	v_and_b32_e32 v6, 0xffff, v6
	v_lshlrev_b32_e32 v169, 4, v6
	global_load_b128 v[6:9], v169, s[8:9] offset:3680
	s_wait_loadcnt_dscnt 0x0
	v_mul_f64_e32 v[10:11], v[16:17], v[8:9]
	v_mul_f64_e32 v[8:9], v[14:15], v[8:9]
	s_delay_alu instid0(VALU_DEP_2) | instskip(NEXT) | instid1(VALU_DEP_2)
	v_fma_f64 v[150:151], v[14:15], v[6:7], v[10:11]
	v_fma_f64 v[152:153], v[16:17], v[6:7], -v[8:9]
	ds_load_b128 v[6:9], v120
	ds_load_b128 v[10:13], v120 offset:2048
	s_wait_dscnt 0x1
	v_add_f64_e64 v[14:15], v[6:7], -v[22:23]
	v_add_f64_e64 v[16:17], v[8:9], -v[24:25]
	s_wait_dscnt 0x0
	v_add_f64_e64 v[22:23], v[10:11], -v[26:27]
	v_add_f64_e64 v[24:25], v[12:13], -v[28:29]
	ds_load_b128 v[26:29], v120 offset:4096
	ds_load_b128 v[30:33], v120 offset:6144
	;; [unrolled: 1-line block ×12, first 2 shown]
	global_wb scope:SCOPE_SE
	s_wait_dscnt 0x0
	s_barrier_signal -1
	s_barrier_wait -1
	global_inv scope:SCOPE_SE
	v_fma_f64 v[6:7], v[6:7], 2.0, -v[14:15]
	v_fma_f64 v[8:9], v[8:9], 2.0, -v[16:17]
	;; [unrolled: 1-line block ×4, first 2 shown]
	ds_store_b128 v120, v[14:17] offset:3840
	ds_store_b128 v120, v[6:9]
	s_wait_alu 0xf1ff
	v_cndmask_b32_e64 v6, 0, 0x1e00, s0
	v_add_f64_e64 v[7:8], v[28:29], -v[95:96]
	v_add_f64_e64 v[15:16], v[32:33], -v[99:100]
	v_cmp_gt_u32_e64 s0, 0x1e0, v53
	s_delay_alu instid0(VALU_DEP_4)
	v_add3_u32 v5, 0, v6, v5
	ds_store_b128 v5, v[10:13]
	ds_store_b128 v5, v[22:25] offset:3840
	v_add_f64_e64 v[5:6], v[26:27], -v[38:39]
	v_add_f64_e64 v[13:14], v[30:31], -v[97:98]
	v_fma_f64 v[11:12], v[28:29], 2.0, -v[7:8]
	v_fma_f64 v[24:25], v[32:33], 2.0, -v[15:16]
	s_delay_alu instid0(VALU_DEP_4) | instskip(NEXT) | instid1(VALU_DEP_4)
	v_fma_f64 v[9:10], v[26:27], 2.0, -v[5:6]
	v_fma_f64 v[22:23], v[30:31], 2.0, -v[13:14]
	ds_store_b128 v120, v[9:12] offset:7936
	ds_store_b128 v120, v[5:8] offset:11776
	v_mul_u32_u24_e32 v5, 0x1e00, v40
	v_add_f64_e64 v[7:8], v[36:37], -v[103:104]
	s_delay_alu instid0(VALU_DEP_2)
	v_add3_u32 v5, 0, v5, v154
	ds_store_b128 v5, v[22:25]
	ds_store_b128 v5, v[13:16] offset:3840
	v_add_f64_e64 v[5:6], v[34:35], -v[101:102]
	v_add_nc_u32_e32 v13, 0, v155
	v_add_f64_e64 v[15:16], v[93:94], -v[152:153]
	v_fma_f64 v[11:12], v[36:37], 2.0, -v[7:8]
	s_delay_alu instid0(VALU_DEP_4)
	v_fma_f64 v[9:10], v[34:35], 2.0, -v[5:6]
	ds_store_b128 v13, v[9:12] offset:15360
	ds_store_b128 v13, v[5:8] offset:19200
	v_add_f64_e64 v[5:6], v[59:60], -v[105:106]
	v_add_f64_e64 v[7:8], v[61:62], -v[107:108]
	v_mul_u32_u24_e32 v13, 0x1e00, v55
	v_lshrrev_b32_e32 v108, 19, v51
	s_delay_alu instid0(VALU_DEP_2)
	v_add3_u32 v13, 0, v13, v156
	v_fma_f64 v[9:10], v[59:60], 2.0, -v[5:6]
	v_fma_f64 v[11:12], v[61:62], 2.0, -v[7:8]
	ds_store_b128 v13, v[9:12]
	ds_store_b128 v13, v[5:8] offset:3840
	v_add_f64_e64 v[5:6], v[63:64], -v[116:117]
	v_add_f64_e64 v[7:8], v[65:66], -v[118:119]
	v_add_nc_u32_e32 v13, 0, v158
	s_delay_alu instid0(VALU_DEP_3) | instskip(NEXT) | instid1(VALU_DEP_3)
	v_fma_f64 v[9:10], v[63:64], 2.0, -v[5:6]
	v_fma_f64 v[11:12], v[65:66], 2.0, -v[7:8]
	ds_store_b128 v13, v[9:12] offset:23040
	ds_store_b128 v13, v[5:8] offset:26880
	v_add_f64_e64 v[5:6], v[18:19], -v[121:122]
	v_add_f64_e64 v[7:8], v[20:21], -v[124:125]
	v_mul_u32_u24_e32 v13, 0x1e00, v157
	s_delay_alu instid0(VALU_DEP_1) | instskip(NEXT) | instid1(VALU_DEP_4)
	v_add3_u32 v13, 0, v13, v159
	v_fma_f64 v[9:10], v[18:19], 2.0, -v[5:6]
	s_delay_alu instid0(VALU_DEP_4)
	v_fma_f64 v[11:12], v[20:21], 2.0, -v[7:8]
	ds_store_b128 v13, v[9:12]
	ds_store_b128 v13, v[5:8] offset:3840
	v_add_f64_e64 v[5:6], v[67:68], -v[126:127]
	v_add_f64_e64 v[7:8], v[69:70], -v[128:129]
	v_add_nc_u32_e32 v13, 0, v161
	v_fma_f64 v[19:20], v[93:94], 2.0, -v[15:16]
	v_mul_u32_u24_e32 v21, 0x1e00, v166
	s_delay_alu instid0(VALU_DEP_1)
	v_add3_u32 v21, 0, v21, v168
	v_fma_f64 v[9:10], v[67:68], 2.0, -v[5:6]
	v_fma_f64 v[11:12], v[69:70], 2.0, -v[7:8]
	ds_store_b128 v13, v[9:12] offset:30720
	ds_store_b128 v13, v[5:8] offset:34560
	v_add_f64_e64 v[5:6], v[71:72], -v[130:131]
	v_add_f64_e64 v[7:8], v[73:74], -v[132:133]
	v_mul_u32_u24_e32 v13, 0x1e00, v160
	s_delay_alu instid0(VALU_DEP_1) | instskip(NEXT) | instid1(VALU_DEP_4)
	v_add3_u32 v13, 0, v13, v162
	v_fma_f64 v[9:10], v[71:72], 2.0, -v[5:6]
	s_delay_alu instid0(VALU_DEP_4)
	v_fma_f64 v[11:12], v[73:74], 2.0, -v[7:8]
	ds_store_b128 v13, v[9:12]
	ds_store_b128 v13, v[5:8] offset:3840
	v_add_f64_e64 v[5:6], v[75:76], -v[134:135]
	v_add_f64_e64 v[7:8], v[77:78], -v[136:137]
	v_add_nc_u32_e32 v13, 0, v164
	s_delay_alu instid0(VALU_DEP_3) | instskip(NEXT) | instid1(VALU_DEP_3)
	v_fma_f64 v[9:10], v[75:76], 2.0, -v[5:6]
	v_fma_f64 v[11:12], v[77:78], 2.0, -v[7:8]
	ds_store_b128 v13, v[9:12] offset:38400
	ds_store_b128 v13, v[5:8] offset:42240
	v_add_f64_e64 v[5:6], v[79:80], -v[138:139]
	v_add_f64_e64 v[7:8], v[81:82], -v[140:141]
	v_mul_u32_u24_e32 v13, 0x1e00, v163
	v_lshrrev_b32_e32 v139, 24, v48
	s_delay_alu instid0(VALU_DEP_2)
	v_add3_u32 v13, 0, v13, v165
	v_fma_f64 v[9:10], v[79:80], 2.0, -v[5:6]
	v_fma_f64 v[11:12], v[81:82], 2.0, -v[7:8]
	ds_store_b128 v13, v[9:12]
	ds_store_b128 v13, v[5:8] offset:3840
	v_add_f64_e64 v[5:6], v[83:84], -v[142:143]
	v_add_f64_e64 v[7:8], v[85:86], -v[144:145]
	v_add_nc_u32_e32 v13, 0, v167
	s_delay_alu instid0(VALU_DEP_3) | instskip(NEXT) | instid1(VALU_DEP_3)
	v_fma_f64 v[9:10], v[83:84], 2.0, -v[5:6]
	v_fma_f64 v[11:12], v[85:86], 2.0, -v[7:8]
	ds_store_b128 v13, v[9:12] offset:46080
	ds_store_b128 v13, v[5:8] offset:49920
	v_add_f64_e64 v[5:6], v[87:88], -v[146:147]
	v_add_f64_e64 v[7:8], v[89:90], -v[148:149]
	;; [unrolled: 1-line block ×3, first 2 shown]
	s_delay_alu instid0(VALU_DEP_3) | instskip(NEXT) | instid1(VALU_DEP_3)
	v_fma_f64 v[9:10], v[87:88], 2.0, -v[5:6]
	v_fma_f64 v[11:12], v[89:90], 2.0, -v[7:8]
	s_delay_alu instid0(VALU_DEP_3)
	v_fma_f64 v[17:18], v[91:92], 2.0, -v[13:14]
	ds_store_b128 v21, v[9:12]
	v_add_nc_u32_e32 v9, 0, v169
	ds_store_b128 v21, v[5:8] offset:3840
	ds_store_b128 v9, v[17:20] offset:53760
	;; [unrolled: 1-line block ×3, first 2 shown]
	global_wb scope:SCOPE_SE
	s_wait_dscnt 0x0
	s_barrier_signal -1
	s_barrier_wait -1
	global_inv scope:SCOPE_SE
	global_load_b128 v[5:8], v[3:4], off offset:7520
	ds_load_b128 v[9:12], v120 offset:30720
	ds_load_b128 v[17:20], v123
	global_load_b128 v[13:16], v[1:2], off offset:8032
	s_wait_loadcnt_dscnt 0x101
	v_mul_f64_e32 v[21:22], v[11:12], v[7:8]
	v_mul_f64_e32 v[7:8], v[9:10], v[7:8]
	s_delay_alu instid0(VALU_DEP_2) | instskip(NEXT) | instid1(VALU_DEP_2)
	v_fma_f64 v[37:38], v[9:10], v[5:6], v[21:22]
	v_fma_f64 v[39:40], v[11:12], v[5:6], -v[7:8]
	global_load_b128 v[5:8], v[1:2], off offset:9568
	ds_load_b128 v[9:12], v120 offset:32768
	ds_load_b128 v[21:24], v120 offset:34816
	global_load_b128 v[25:28], v[1:2], off offset:10080
	s_wait_loadcnt_dscnt 0x101
	v_mul_f64_e32 v[29:30], v[11:12], v[7:8]
	v_mul_f64_e32 v[7:8], v[9:10], v[7:8]
	s_delay_alu instid0(VALU_DEP_2) | instskip(NEXT) | instid1(VALU_DEP_2)
	v_fma_f64 v[54:55], v[9:10], v[5:6], v[29:30]
	v_fma_f64 v[59:60], v[11:12], v[5:6], -v[7:8]
	s_clause 0x1
	global_load_b128 v[5:8], v[1:2], off offset:11616
	global_load_b128 v[9:12], v[1:2], off offset:12128
	s_wait_loadcnt_dscnt 0x100
	v_mul_f64_e32 v[29:30], v[23:24], v[7:8]
	v_mul_f64_e32 v[7:8], v[21:22], v[7:8]
	s_delay_alu instid0(VALU_DEP_2) | instskip(NEXT) | instid1(VALU_DEP_2)
	v_fma_f64 v[61:62], v[21:22], v[5:6], v[29:30]
	v_fma_f64 v[63:64], v[23:24], v[5:6], -v[7:8]
	v_add_nc_u32_e32 v5, 0xffffffa0, v111
	v_mul_lo_u16 v7, 0x1e0, v108
	s_wait_alu 0xf1ff
	s_delay_alu instid0(VALU_DEP_2) | instskip(NEXT) | instid1(VALU_DEP_2)
	v_cndmask_b32_e64 v111, v5, v53, s0
	v_sub_nc_u16 v7, v186, v7
	s_delay_alu instid0(VALU_DEP_2) | instskip(NEXT) | instid1(VALU_DEP_2)
	v_lshlrev_b64_e32 v[5:6], 4, v[111:112]
	v_and_b32_e32 v7, 0xffff, v7
	s_delay_alu instid0(VALU_DEP_2) | instskip(SKIP_1) | instid1(VALU_DEP_3)
	v_add_co_u32 v5, s0, s8, v5
	s_wait_alu 0xf1ff
	v_add_co_ci_u32_e64 v6, s0, s9, v6, s0
	s_delay_alu instid0(VALU_DEP_3)
	v_lshlrev_b32_e32 v136, 4, v7
	v_cmp_lt_u32_e64 s0, 0x1df, v53
	global_load_b128 v[5:8], v[5:6], off offset:7520
	ds_load_b128 v[21:24], v120 offset:36864
	ds_load_b128 v[29:32], v120 offset:38912
	global_load_b128 v[33:36], v136, s[8:9] offset:7520
	s_wait_loadcnt_dscnt 0x101
	v_mul_f64_e32 v[65:66], v[23:24], v[7:8]
	v_mul_f64_e32 v[7:8], v[21:22], v[7:8]
	s_delay_alu instid0(VALU_DEP_2) | instskip(NEXT) | instid1(VALU_DEP_2)
	v_fma_f64 v[65:66], v[21:22], v[5:6], v[65:66]
	v_fma_f64 v[67:68], v[23:24], v[5:6], -v[7:8]
	s_wait_dscnt 0x0
	v_mul_f64_e32 v[5:6], v[31:32], v[15:16]
	s_delay_alu instid0(VALU_DEP_1) | instskip(SKIP_1) | instid1(VALU_DEP_1)
	v_fma_f64 v[82:83], v[29:30], v[13:14], v[5:6]
	v_mul_f64_e32 v[5:6], v[29:30], v[15:16]
	v_fma_f64 v[84:85], v[31:32], v[13:14], -v[5:6]
	ds_load_b128 v[5:8], v120 offset:40960
	ds_load_b128 v[13:16], v120 offset:43008
	s_wait_dscnt 0x1
	v_mul_f64_e32 v[21:22], v[7:8], v[27:28]
	s_delay_alu instid0(VALU_DEP_1) | instskip(SKIP_1) | instid1(VALU_DEP_1)
	v_fma_f64 v[86:87], v[5:6], v[25:26], v[21:22]
	v_mul_f64_e32 v[5:6], v[5:6], v[27:28]
	v_fma_f64 v[88:89], v[7:8], v[25:26], -v[5:6]
	s_wait_dscnt 0x0
	v_mul_f64_e32 v[5:6], v[15:16], v[11:12]
	s_delay_alu instid0(VALU_DEP_1) | instskip(SKIP_1) | instid1(VALU_DEP_1)
	v_fma_f64 v[90:91], v[13:14], v[9:10], v[5:6]
	v_mul_f64_e32 v[5:6], v[13:14], v[11:12]
	v_fma_f64 v[92:93], v[15:16], v[9:10], -v[5:6]
	ds_load_b128 v[5:8], v120 offset:45056
	ds_load_b128 v[9:12], v120 offset:47104
	s_wait_loadcnt_dscnt 0x1
	v_mul_f64_e32 v[13:14], v[7:8], v[35:36]
	s_delay_alu instid0(VALU_DEP_1) | instskip(SKIP_1) | instid1(VALU_DEP_1)
	v_fma_f64 v[94:95], v[5:6], v[33:34], v[13:14]
	v_mul_f64_e32 v[5:6], v[5:6], v[35:36]
	v_fma_f64 v[96:97], v[7:8], v[33:34], -v[5:6]
	v_lshrrev_b32_e32 v5, 24, v43
	v_lshrrev_b32_e32 v6, 24, v44
	s_delay_alu instid0(VALU_DEP_2) | instskip(NEXT) | instid1(VALU_DEP_2)
	v_mul_lo_u16 v5, 0x1e0, v5
	v_mul_lo_u16 v6, 0x1e0, v6
	s_delay_alu instid0(VALU_DEP_2) | instskip(NEXT) | instid1(VALU_DEP_2)
	v_sub_nc_u16 v5, v41, v5
	v_sub_nc_u16 v6, v42, v6
	s_delay_alu instid0(VALU_DEP_2) | instskip(NEXT) | instid1(VALU_DEP_2)
	v_and_b32_e32 v5, 0xffff, v5
	v_and_b32_e32 v6, 0xffff, v6
	s_delay_alu instid0(VALU_DEP_2) | instskip(NEXT) | instid1(VALU_DEP_2)
	v_lshlrev_b32_e32 v137, 4, v5
	v_lshlrev_b32_e32 v138, 4, v6
	s_clause 0x1
	global_load_b128 v[5:8], v137, s[8:9] offset:7520
	global_load_b128 v[13:16], v138, s[8:9] offset:7520
	s_wait_loadcnt_dscnt 0x100
	v_mul_f64_e32 v[21:22], v[11:12], v[7:8]
	v_mul_f64_e32 v[7:8], v[9:10], v[7:8]
	s_delay_alu instid0(VALU_DEP_2) | instskip(NEXT) | instid1(VALU_DEP_2)
	v_fma_f64 v[98:99], v[9:10], v[5:6], v[21:22]
	v_fma_f64 v[100:101], v[11:12], v[5:6], -v[7:8]
	ds_load_b128 v[5:8], v120 offset:49152
	ds_load_b128 v[9:12], v120 offset:51200
	s_wait_loadcnt_dscnt 0x1
	v_mul_f64_e32 v[21:22], v[7:8], v[15:16]
	s_delay_alu instid0(VALU_DEP_1) | instskip(SKIP_1) | instid1(VALU_DEP_1)
	v_fma_f64 v[102:103], v[5:6], v[13:14], v[21:22]
	v_mul_f64_e32 v[5:6], v[5:6], v[15:16]
	v_fma_f64 v[104:105], v[7:8], v[13:14], -v[5:6]
	v_lshrrev_b32_e32 v5, 24, v47
	v_mul_lo_u16 v6, 0x1e0, v139
	s_delay_alu instid0(VALU_DEP_2) | instskip(NEXT) | instid1(VALU_DEP_2)
	v_mul_lo_u16 v5, 0x1e0, v5
	v_sub_nc_u16 v6, v46, v6
	s_delay_alu instid0(VALU_DEP_2) | instskip(NEXT) | instid1(VALU_DEP_2)
	v_sub_nc_u16 v5, v45, v5
	v_and_b32_e32 v6, 0xffff, v6
	s_delay_alu instid0(VALU_DEP_2) | instskip(NEXT) | instid1(VALU_DEP_2)
	v_and_b32_e32 v5, 0xffff, v5
	v_lshlrev_b32_e32 v141, 4, v6
	s_delay_alu instid0(VALU_DEP_2)
	v_lshlrev_b32_e32 v140, 4, v5
	s_clause 0x1
	global_load_b128 v[5:8], v140, s[8:9] offset:7520
	global_load_b128 v[13:16], v141, s[8:9] offset:7520
	s_wait_loadcnt_dscnt 0x100
	v_mul_f64_e32 v[21:22], v[11:12], v[7:8]
	v_mul_f64_e32 v[7:8], v[9:10], v[7:8]
	s_delay_alu instid0(VALU_DEP_2) | instskip(NEXT) | instid1(VALU_DEP_2)
	v_fma_f64 v[106:107], v[9:10], v[5:6], v[21:22]
	v_fma_f64 v[116:117], v[11:12], v[5:6], -v[7:8]
	ds_load_b128 v[5:8], v120 offset:53248
	ds_load_b128 v[9:12], v120 offset:55296
	s_wait_loadcnt_dscnt 0x1
	v_mul_f64_e32 v[21:22], v[7:8], v[15:16]
	s_delay_alu instid0(VALU_DEP_1) | instskip(SKIP_1) | instid1(VALU_DEP_1)
	v_fma_f64 v[118:119], v[5:6], v[13:14], v[21:22]
	v_mul_f64_e32 v[5:6], v[5:6], v[15:16]
	v_fma_f64 v[121:122], v[7:8], v[13:14], -v[5:6]
	v_lshrrev_b32_e32 v5, 24, v52
	v_lshrrev_b32_e32 v6, 24, v56
	s_delay_alu instid0(VALU_DEP_2) | instskip(NEXT) | instid1(VALU_DEP_2)
	v_mul_lo_u16 v5, 0x1e0, v5
	v_mul_lo_u16 v6, 0x1e0, v6
	s_delay_alu instid0(VALU_DEP_2) | instskip(NEXT) | instid1(VALU_DEP_2)
	v_sub_nc_u16 v5, v49, v5
	v_sub_nc_u16 v6, v50, v6
	s_delay_alu instid0(VALU_DEP_2) | instskip(NEXT) | instid1(VALU_DEP_2)
	v_and_b32_e32 v5, 0xffff, v5
	v_and_b32_e32 v6, 0xffff, v6
	s_delay_alu instid0(VALU_DEP_2) | instskip(NEXT) | instid1(VALU_DEP_2)
	v_lshlrev_b32_e32 v142, 4, v5
	v_lshlrev_b32_e32 v143, 4, v6
	s_clause 0x1
	global_load_b128 v[5:8], v142, s[8:9] offset:7520
	global_load_b128 v[13:16], v143, s[8:9] offset:7520
	s_wait_loadcnt_dscnt 0x100
	v_mul_f64_e32 v[21:22], v[11:12], v[7:8]
	v_mul_f64_e32 v[7:8], v[9:10], v[7:8]
	s_delay_alu instid0(VALU_DEP_2) | instskip(NEXT) | instid1(VALU_DEP_2)
	v_fma_f64 v[124:125], v[9:10], v[5:6], v[21:22]
	v_fma_f64 v[126:127], v[11:12], v[5:6], -v[7:8]
	ds_load_b128 v[5:8], v120 offset:57344
	ds_load_b128 v[9:12], v120 offset:59392
	s_wait_loadcnt_dscnt 0x1
	v_mul_f64_e32 v[21:22], v[7:8], v[15:16]
	s_delay_alu instid0(VALU_DEP_1) | instskip(SKIP_1) | instid1(VALU_DEP_1)
	v_fma_f64 v[128:129], v[5:6], v[13:14], v[21:22]
	v_mul_f64_e32 v[5:6], v[5:6], v[15:16]
	v_fma_f64 v[130:131], v[7:8], v[13:14], -v[5:6]
	v_lshrrev_b32_e32 v5, 24, v58
	s_delay_alu instid0(VALU_DEP_1) | instskip(NEXT) | instid1(VALU_DEP_1)
	v_mul_lo_u16 v5, 0x1e0, v5
	v_sub_nc_u16 v5, v57, v5
	s_delay_alu instid0(VALU_DEP_1) | instskip(NEXT) | instid1(VALU_DEP_1)
	v_and_b32_e32 v5, 0xffff, v5
	v_lshlrev_b32_e32 v144, 4, v5
	global_load_b128 v[5:8], v144, s[8:9] offset:7520
	s_wait_loadcnt_dscnt 0x0
	v_mul_f64_e32 v[13:14], v[11:12], v[7:8]
	v_mul_f64_e32 v[7:8], v[9:10], v[7:8]
	s_delay_alu instid0(VALU_DEP_2) | instskip(NEXT) | instid1(VALU_DEP_2)
	v_fma_f64 v[132:133], v[9:10], v[5:6], v[13:14]
	v_fma_f64 v[134:135], v[11:12], v[5:6], -v[7:8]
	ds_load_b128 v[5:8], v120
	ds_load_b128 v[9:12], v120 offset:2048
	ds_load_b128 v[25:28], v120 offset:4096
	;; [unrolled: 1-line block ×3, first 2 shown]
	s_wait_dscnt 0x3
	v_add_f64_e64 v[13:14], v[5:6], -v[37:38]
	v_add_f64_e64 v[15:16], v[7:8], -v[39:40]
	s_wait_dscnt 0x2
	v_add_f64_e64 v[21:22], v[9:10], -v[54:55]
	v_add_f64_e64 v[23:24], v[11:12], -v[59:60]
	;; [unrolled: 3-line block ×4, first 2 shown]
	ds_load_b128 v[41:44], v120 offset:8192
	ds_load_b128 v[45:48], v120 offset:10240
	ds_load_b128 v[49:52], v120 offset:12288
	ds_load_b128 v[54:57], v120 offset:16384
	ds_load_b128 v[58:61], v120 offset:18432
	ds_load_b128 v[62:65], v120 offset:20480
	ds_load_b128 v[66:69], v120 offset:22528
	ds_load_b128 v[70:73], v120 offset:24576
	ds_load_b128 v[74:77], v120 offset:26624
	ds_load_b128 v[78:81], v120 offset:28672
	global_wb scope:SCOPE_SE
	s_wait_dscnt 0x0
	s_barrier_signal -1
	s_barrier_wait -1
	global_inv scope:SCOPE_SE
	v_fma_f64 v[5:6], v[5:6], 2.0, -v[13:14]
	v_fma_f64 v[7:8], v[7:8], 2.0, -v[15:16]
	;; [unrolled: 1-line block ×8, first 2 shown]
	ds_store_b128 v120, v[21:24] offset:9728
	ds_store_b128 v120, v[33:36] offset:11776
	ds_store_b128 v120, v[5:8]
	ds_store_b128 v120, v[9:12] offset:2048
	ds_store_b128 v120, v[13:16] offset:7680
	;; [unrolled: 1-line block ×3, first 2 shown]
	s_wait_alu 0xf1ff
	v_cndmask_b32_e64 v5, 0, 0x3c00, s0
	v_lshlrev_b32_e32 v6, 4, v111
	v_add_f64_e64 v[7:8], v[43:44], -v[84:85]
	v_add_f64_e64 v[13:14], v[45:46], -v[86:87]
	;; [unrolled: 1-line block ×4, first 2 shown]
	v_add3_u32 v5, 0, v5, v6
	ds_store_b128 v5, v[29:32]
	ds_store_b128 v5, v[37:40] offset:7680
	v_add_f64_e64 v[5:6], v[41:42], -v[82:83]
	v_add_f64_e64 v[27:28], v[51:52], -v[92:93]
	;; [unrolled: 1-line block ×4, first 2 shown]
	v_mul_u32_u24_e32 v37, 0x3c00, v139
	s_delay_alu instid0(VALU_DEP_1)
	v_add3_u32 v37, 0, v37, v141
	v_fma_f64 v[11:12], v[43:44], 2.0, -v[7:8]
	v_fma_f64 v[21:22], v[45:46], 2.0, -v[13:14]
	;; [unrolled: 1-line block ×8, first 2 shown]
	ds_store_b128 v120, v[9:12] offset:15872
	ds_store_b128 v120, v[21:24] offset:17920
	;; [unrolled: 1-line block ×6, first 2 shown]
	v_mul_u32_u24_e32 v5, 0x3c00, v108
	v_add_f64_e64 v[7:8], v[56:57], -v[100:101]
	v_add_nc_u32_e32 v13, 0, v137
	v_add_f64_e64 v[15:16], v[72:73], -v[126:127]
	v_add_f64_e64 v[21:22], v[74:75], -v[128:129]
	v_add3_u32 v5, 0, v5, v136
	ds_store_b128 v5, v[17:20]
	ds_store_b128 v5, v[33:36] offset:7680
	v_add_f64_e64 v[5:6], v[54:55], -v[98:99]
	v_add_f64_e64 v[23:24], v[76:77], -v[130:131]
	;; [unrolled: 1-line block ×4, first 2 shown]
	v_fma_f64 v[11:12], v[56:57], 2.0, -v[7:8]
	v_fma_f64 v[19:20], v[72:73], 2.0, -v[15:16]
	;; [unrolled: 1-line block ×4, first 2 shown]
	ds_store_b128 v13, v[9:12] offset:30720
	ds_store_b128 v13, v[5:8] offset:38400
	v_add_f64_e64 v[5:6], v[58:59], -v[102:103]
	v_add_f64_e64 v[7:8], v[60:61], -v[104:105]
	v_add_nc_u32_e32 v13, 0, v138
	v_fma_f64 v[27:28], v[76:77], 2.0, -v[23:24]
	v_fma_f64 v[33:34], v[78:79], 2.0, -v[29:30]
	;; [unrolled: 1-line block ×5, first 2 shown]
	ds_store_b128 v13, v[9:12] offset:30720
	ds_store_b128 v13, v[5:8] offset:38400
	v_add_f64_e64 v[5:6], v[62:63], -v[106:107]
	v_add_f64_e64 v[7:8], v[64:65], -v[116:117]
	v_add_nc_u32_e32 v13, 0, v140
	s_delay_alu instid0(VALU_DEP_3) | instskip(NEXT) | instid1(VALU_DEP_3)
	v_fma_f64 v[9:10], v[62:63], 2.0, -v[5:6]
	v_fma_f64 v[11:12], v[64:65], 2.0, -v[7:8]
	ds_store_b128 v13, v[9:12] offset:30720
	ds_store_b128 v13, v[5:8] offset:38400
	v_add_f64_e64 v[5:6], v[66:67], -v[118:119]
	v_add_f64_e64 v[7:8], v[68:69], -v[121:122]
	;; [unrolled: 1-line block ×3, first 2 shown]
	s_delay_alu instid0(VALU_DEP_3) | instskip(NEXT) | instid1(VALU_DEP_3)
	v_fma_f64 v[9:10], v[66:67], 2.0, -v[5:6]
	v_fma_f64 v[11:12], v[68:69], 2.0, -v[7:8]
	s_delay_alu instid0(VALU_DEP_3)
	v_fma_f64 v[17:18], v[70:71], 2.0, -v[13:14]
	ds_store_b128 v37, v[9:12]
	v_add_nc_u32_e32 v9, 0, v142
	v_add_nc_u32_e32 v10, 0, v143
	;; [unrolled: 1-line block ×3, first 2 shown]
	ds_store_b128 v37, v[5:8] offset:7680
	ds_store_b128 v9, v[17:20] offset:46080
	;; [unrolled: 1-line block ×7, first 2 shown]
	global_wb scope:SCOPE_SE
	s_wait_dscnt 0x0
	s_barrier_signal -1
	s_barrier_wait -1
	global_inv scope:SCOPE_SE
	s_clause 0x1
	global_load_b128 v[5:8], v[3:4], off offset:15200
	global_load_b128 v[9:12], v[1:2], off offset:17248
	ds_load_b128 v[13:16], v120 offset:30720
	ds_load_b128 v[21:24], v123
	global_load_b128 v[17:20], v[1:2], off offset:16224
	ds_load_b128 v[25:28], v120 offset:32768
	ds_load_b128 v[29:32], v120 offset:34816
	s_wait_loadcnt_dscnt 0x203
	v_mul_f64_e32 v[33:34], v[15:16], v[7:8]
	v_mul_f64_e32 v[7:8], v[13:14], v[7:8]
	s_delay_alu instid0(VALU_DEP_2) | instskip(SKIP_3) | instid1(VALU_DEP_4)
	v_fma_f64 v[49:50], v[13:14], v[5:6], v[33:34]
	s_wait_loadcnt_dscnt 0x101
	v_mul_f64_e32 v[13:14], v[27:28], v[11:12]
	v_mul_f64_e32 v[11:12], v[25:26], v[11:12]
	v_fma_f64 v[51:52], v[15:16], v[5:6], -v[7:8]
	global_load_b128 v[5:8], v[1:2], off offset:18272
	v_fma_f64 v[53:54], v[25:26], v[9:10], v[13:14]
	v_fma_f64 v[55:56], v[27:28], v[9:10], -v[11:12]
	s_clause 0x1
	global_load_b128 v[9:12], v[1:2], off offset:19296
	global_load_b128 v[13:16], v[1:2], off offset:20320
	s_wait_loadcnt_dscnt 0x100
	v_mul_f64_e32 v[25:26], v[31:32], v[11:12]
	v_mul_f64_e32 v[11:12], v[29:30], v[11:12]
	s_delay_alu instid0(VALU_DEP_2) | instskip(NEXT) | instid1(VALU_DEP_2)
	v_fma_f64 v[57:58], v[29:30], v[9:10], v[25:26]
	v_fma_f64 v[59:60], v[31:32], v[9:10], -v[11:12]
	global_load_b128 v[9:12], v[1:2], off offset:21344
	ds_load_b128 v[25:28], v120 offset:36864
	ds_load_b128 v[29:32], v120 offset:38912
	global_load_b128 v[33:36], v[1:2], off offset:22368
	s_wait_loadcnt_dscnt 0x101
	v_mul_f64_e32 v[37:38], v[27:28], v[11:12]
	v_mul_f64_e32 v[11:12], v[25:26], v[11:12]
	s_delay_alu instid0(VALU_DEP_2) | instskip(NEXT) | instid1(VALU_DEP_2)
	v_fma_f64 v[61:62], v[25:26], v[9:10], v[37:38]
	v_fma_f64 v[63:64], v[27:28], v[9:10], -v[11:12]
	s_clause 0x1
	global_load_b128 v[9:12], v[1:2], off offset:23392
	global_load_b128 v[25:28], v[1:2], off offset:24416
	s_wait_loadcnt_dscnt 0x100
	v_mul_f64_e32 v[37:38], v[31:32], v[11:12]
	v_mul_f64_e32 v[11:12], v[29:30], v[11:12]
	s_delay_alu instid0(VALU_DEP_2) | instskip(NEXT) | instid1(VALU_DEP_2)
	v_fma_f64 v[65:66], v[29:30], v[9:10], v[37:38]
	v_fma_f64 v[67:68], v[31:32], v[9:10], -v[11:12]
	global_load_b128 v[9:12], v[1:2], off offset:25440
	ds_load_b128 v[29:32], v120 offset:40960
	ds_load_b128 v[37:40], v120 offset:43008
	global_load_b128 v[41:44], v[1:2], off offset:26464
	s_wait_loadcnt_dscnt 0x101
	v_mul_f64_e32 v[45:46], v[31:32], v[11:12]
	v_mul_f64_e32 v[11:12], v[29:30], v[11:12]
	s_delay_alu instid0(VALU_DEP_2) | instskip(NEXT) | instid1(VALU_DEP_2)
	v_fma_f64 v[69:70], v[29:30], v[9:10], v[45:46]
	v_fma_f64 v[71:72], v[31:32], v[9:10], -v[11:12]
	s_clause 0x1
	global_load_b128 v[9:12], v[1:2], off offset:27488
	global_load_b128 v[29:32], v[1:2], off offset:28512
	s_wait_loadcnt_dscnt 0x100
	v_mul_f64_e32 v[45:46], v[39:40], v[11:12]
	v_mul_f64_e32 v[11:12], v[37:38], v[11:12]
	s_delay_alu instid0(VALU_DEP_2) | instskip(NEXT) | instid1(VALU_DEP_2)
	v_fma_f64 v[73:74], v[37:38], v[9:10], v[45:46]
	v_fma_f64 v[75:76], v[39:40], v[9:10], -v[11:12]
	v_mov_b32_e32 v9, v186
	s_delay_alu instid0(VALU_DEP_1) | instskip(SKIP_1) | instid1(VALU_DEP_1)
	v_cmp_gt_u32_e64 s0, 0x3c0, v9
	s_wait_alu 0xf1ff
	v_cndmask_b32_e64 v111, v0, v9, s0
	v_mov_b32_e32 v0, v186
	s_delay_alu instid0(VALU_DEP_2) | instskip(NEXT) | instid1(VALU_DEP_1)
	v_lshlrev_b64_e32 v[9:10], 4, v[111:112]
	v_add_co_u32 v9, s0, s8, v9
	s_wait_alu 0xf1ff
	s_delay_alu instid0(VALU_DEP_2)
	v_add_co_ci_u32_e64 v10, s0, s9, v10, s0
	v_cmp_lt_u32_e64 s0, 0x3bf, v0
	global_load_b128 v[9:12], v[9:10], off offset:15200
	ds_load_b128 v[37:40], v120 offset:45056
	ds_load_b128 v[45:48], v120 offset:47104
	s_wait_alu 0xf1ff
	v_cndmask_b32_e64 v0, 0, 0x7800, s0
	s_wait_loadcnt_dscnt 0x1
	v_mul_f64_e32 v[77:78], v[39:40], v[11:12]
	v_mul_f64_e32 v[11:12], v[37:38], v[11:12]
	s_delay_alu instid0(VALU_DEP_2) | instskip(NEXT) | instid1(VALU_DEP_2)
	v_fma_f64 v[77:78], v[37:38], v[9:10], v[77:78]
	v_fma_f64 v[79:80], v[39:40], v[9:10], -v[11:12]
	s_wait_dscnt 0x0
	v_mul_f64_e32 v[9:10], v[47:48], v[19:20]
	s_delay_alu instid0(VALU_DEP_1) | instskip(SKIP_1) | instid1(VALU_DEP_1)
	v_fma_f64 v[97:98], v[45:46], v[17:18], v[9:10]
	v_mul_f64_e32 v[9:10], v[45:46], v[19:20]
	v_fma_f64 v[99:100], v[47:48], v[17:18], -v[9:10]
	ds_load_b128 v[9:12], v120 offset:49152
	ds_load_b128 v[17:20], v120 offset:51200
	s_wait_dscnt 0x1
	v_mul_f64_e32 v[37:38], v[11:12], v[7:8]
	v_mul_f64_e32 v[7:8], v[9:10], v[7:8]
	s_delay_alu instid0(VALU_DEP_2) | instskip(NEXT) | instid1(VALU_DEP_2)
	v_fma_f64 v[101:102], v[9:10], v[5:6], v[37:38]
	v_fma_f64 v[103:104], v[11:12], v[5:6], -v[7:8]
	s_wait_dscnt 0x0
	v_mul_f64_e32 v[5:6], v[19:20], v[15:16]
	s_delay_alu instid0(VALU_DEP_1) | instskip(SKIP_1) | instid1(VALU_DEP_1)
	v_fma_f64 v[105:106], v[17:18], v[13:14], v[5:6]
	v_mul_f64_e32 v[5:6], v[17:18], v[15:16]
	v_fma_f64 v[107:108], v[19:20], v[13:14], -v[5:6]
	ds_load_b128 v[5:8], v120 offset:53248
	ds_load_b128 v[9:12], v120 offset:55296
	s_wait_dscnt 0x1
	v_mul_f64_e32 v[13:14], v[7:8], v[35:36]
	s_delay_alu instid0(VALU_DEP_1) | instskip(SKIP_1) | instid1(VALU_DEP_1)
	v_fma_f64 v[116:117], v[5:6], v[33:34], v[13:14]
	v_mul_f64_e32 v[5:6], v[5:6], v[35:36]
	v_fma_f64 v[118:119], v[7:8], v[33:34], -v[5:6]
	s_wait_dscnt 0x0
	v_mul_f64_e32 v[5:6], v[11:12], v[27:28]
	s_delay_alu instid0(VALU_DEP_1) | instskip(SKIP_1) | instid1(VALU_DEP_1)
	v_fma_f64 v[121:122], v[9:10], v[25:26], v[5:6]
	v_mul_f64_e32 v[5:6], v[9:10], v[27:28]
	v_fma_f64 v[124:125], v[11:12], v[25:26], -v[5:6]
	ds_load_b128 v[5:8], v120 offset:57344
	ds_load_b128 v[9:12], v120 offset:59392
	s_wait_dscnt 0x1
	v_mul_f64_e32 v[13:14], v[7:8], v[43:44]
	s_delay_alu instid0(VALU_DEP_1) | instskip(SKIP_1) | instid1(VALU_DEP_1)
	v_fma_f64 v[126:127], v[5:6], v[41:42], v[13:14]
	v_mul_f64_e32 v[5:6], v[5:6], v[43:44]
	v_fma_f64 v[128:129], v[7:8], v[41:42], -v[5:6]
	s_wait_dscnt 0x0
	v_mul_f64_e32 v[5:6], v[11:12], v[31:32]
	s_delay_alu instid0(VALU_DEP_1) | instskip(SKIP_1) | instid1(VALU_DEP_1)
	v_fma_f64 v[130:131], v[9:10], v[29:30], v[5:6]
	v_mul_f64_e32 v[5:6], v[9:10], v[31:32]
	v_fma_f64 v[132:133], v[11:12], v[29:30], -v[5:6]
	ds_load_b128 v[5:8], v120
	ds_load_b128 v[9:12], v120 offset:2048
	ds_load_b128 v[25:28], v120 offset:4096
	ds_load_b128 v[29:32], v120 offset:6144
	ds_load_b128 v[41:44], v120 offset:8192
	ds_load_b128 v[45:48], v120 offset:10240
	s_wait_dscnt 0x5
	v_add_f64_e64 v[13:14], v[5:6], -v[49:50]
	s_wait_dscnt 0x3
	v_add_f64_e64 v[33:34], v[25:26], -v[57:58]
	v_add_f64_e64 v[35:36], v[27:28], -v[59:60]
	s_wait_dscnt 0x2
	v_add_f64_e64 v[37:38], v[29:30], -v[61:62]
	v_add_f64_e64 v[39:40], v[31:32], -v[63:64]
	ds_load_b128 v[57:60], v120 offset:12288
	ds_load_b128 v[61:64], v120 offset:16384
	v_add_f64_e64 v[15:16], v[7:8], -v[51:52]
	v_add_f64_e64 v[17:18], v[9:10], -v[53:54]
	;; [unrolled: 1-line block ×3, first 2 shown]
	s_wait_dscnt 0x3
	v_add_f64_e64 v[49:50], v[41:42], -v[65:66]
	v_add_f64_e64 v[51:52], v[43:44], -v[67:68]
	s_wait_dscnt 0x2
	v_add_f64_e64 v[53:54], v[45:46], -v[69:70]
	v_add_f64_e64 v[55:56], v[47:48], -v[71:72]
	;; [unrolled: 1-line block ×4, first 2 shown]
	s_wait_dscnt 0x1
	v_add_f64_e64 v[65:66], v[57:58], -v[73:74]
	v_add_f64_e64 v[67:68], v[59:60], -v[75:76]
	ds_load_b128 v[73:76], v120 offset:18432
	ds_load_b128 v[77:80], v120 offset:20480
	;; [unrolled: 1-line block ×6, first 2 shown]
	global_wb scope:SCOPE_SE
	s_wait_dscnt 0x0
	s_barrier_signal -1
	s_barrier_wait -1
	global_inv scope:SCOPE_SE
	v_fma_f64 v[5:6], v[5:6], 2.0, -v[13:14]
	v_fma_f64 v[25:26], v[25:26], 2.0, -v[33:34]
	;; [unrolled: 1-line block ×16, first 2 shown]
	ds_store_b128 v120, v[17:20] offset:17408
	ds_store_b128 v120, v[33:36] offset:19456
	ds_store_b128 v120, v[37:40] offset:21504
	ds_store_b128 v120, v[49:52] offset:23552
	ds_store_b128 v120, v[53:56] offset:25600
	ds_store_b128 v120, v[65:68] offset:27648
	ds_store_b128 v120, v[5:8]
	ds_store_b128 v120, v[9:12] offset:2048
	ds_store_b128 v120, v[25:28] offset:4096
	;; [unrolled: 1-line block ×7, first 2 shown]
	v_lshlrev_b32_e32 v5, 4, v111
	v_add_f64_e64 v[7:8], v[75:76], -v[103:104]
	v_add_f64_e64 v[13:14], v[77:78], -v[105:106]
	;; [unrolled: 1-line block ×4, first 2 shown]
	v_add3_u32 v0, 0, v0, v5
	v_add_f64_e64 v[5:6], v[73:74], -v[101:102]
	ds_store_b128 v0, v[21:24]
	ds_store_b128 v0, v[69:72] offset:15360
	v_add_f64_e64 v[21:22], v[81:82], -v[116:117]
	v_add_f64_e64 v[23:24], v[83:84], -v[118:119]
	;; [unrolled: 1-line block ×9, first 2 shown]
	v_fma_f64 v[11:12], v[75:76], 2.0, -v[7:8]
	v_fma_f64 v[17:18], v[77:78], 2.0, -v[13:14]
	;; [unrolled: 1-line block ×14, first 2 shown]
	ds_store_b128 v120, v[53:56] offset:47104
	ds_store_b128 v120, v[5:8] offset:49152
	ds_store_b128 v120, v[9:12] offset:33792
	ds_store_b128 v120, v[17:20] offset:35840
	ds_store_b128 v120, v[13:16] offset:51200
	ds_store_b128 v120, v[21:24] offset:53248
	ds_store_b128 v120, v[25:28] offset:37888
	ds_store_b128 v120, v[33:36] offset:39936
	ds_store_b128 v120, v[29:32] offset:55296
	ds_store_b128 v120, v[37:40] offset:57344
	ds_store_b128 v120, v[41:44] offset:41984
	ds_store_b128 v120, v[49:52] offset:44032
	ds_store_b128 v120, v[57:60] offset:31744
	ds_store_b128 v120, v[45:48] offset:59392
	global_wb scope:SCOPE_SE
	s_wait_dscnt 0x0
	s_barrier_signal -1
	s_barrier_wait -1
	global_inv scope:SCOPE_SE
	s_clause 0x5
	global_load_b128 v[3:6], v[3:4], off offset:30560
	global_load_b128 v[7:10], v[1:2], off offset:32608
	;; [unrolled: 1-line block ×6, first 2 shown]
	ds_load_b128 v[27:30], v120 offset:30720
	ds_load_b128 v[31:34], v120 offset:32768
	s_wait_loadcnt_dscnt 0x501
	v_mul_f64_e32 v[35:36], v[29:30], v[5:6]
	v_mul_f64_e32 v[5:6], v[27:28], v[5:6]
	s_delay_alu instid0(VALU_DEP_2) | instskip(NEXT) | instid1(VALU_DEP_2)
	v_fma_f64 v[27:28], v[27:28], v[3:4], v[35:36]
	v_fma_f64 v[29:30], v[29:30], v[3:4], -v[5:6]
	ds_load_b128 v[3:6], v120 offset:34816
	s_wait_loadcnt_dscnt 0x401
	v_mul_f64_e32 v[35:36], v[33:34], v[9:10]
	v_mul_f64_e32 v[9:10], v[31:32], v[9:10]
	s_delay_alu instid0(VALU_DEP_2) | instskip(SKIP_3) | instid1(VALU_DEP_4)
	v_fma_f64 v[31:32], v[31:32], v[7:8], v[35:36]
	s_wait_loadcnt_dscnt 0x300
	v_mul_f64_e32 v[35:36], v[5:6], v[13:14]
	v_mul_f64_e32 v[13:14], v[3:4], v[13:14]
	v_fma_f64 v[33:34], v[33:34], v[7:8], -v[9:10]
	ds_load_b128 v[7:10], v120 offset:36864
	v_fma_f64 v[35:36], v[3:4], v[11:12], v[35:36]
	v_fma_f64 v[37:38], v[5:6], v[11:12], -v[13:14]
	ds_load_b128 v[3:6], v120 offset:38912
	s_wait_loadcnt_dscnt 0x201
	v_mul_f64_e32 v[11:12], v[9:10], v[17:18]
	v_mul_f64_e32 v[13:14], v[7:8], v[17:18]
	s_delay_alu instid0(VALU_DEP_2) | instskip(NEXT) | instid1(VALU_DEP_2)
	v_fma_f64 v[39:40], v[7:8], v[15:16], v[11:12]
	v_fma_f64 v[41:42], v[9:10], v[15:16], -v[13:14]
	s_wait_loadcnt_dscnt 0x100
	v_mul_f64_e32 v[11:12], v[5:6], v[21:22]
	v_mul_f64_e32 v[13:14], v[3:4], v[21:22]
	ds_load_b128 v[7:10], v120 offset:40960
	v_fma_f64 v[43:44], v[3:4], v[19:20], v[11:12]
	v_fma_f64 v[45:46], v[5:6], v[19:20], -v[13:14]
	ds_load_b128 v[3:6], v120 offset:43008
	s_wait_loadcnt_dscnt 0x1
	v_mul_f64_e32 v[11:12], v[9:10], v[25:26]
	v_mul_f64_e32 v[13:14], v[7:8], v[25:26]
	s_delay_alu instid0(VALU_DEP_2) | instskip(NEXT) | instid1(VALU_DEP_2)
	v_fma_f64 v[47:48], v[7:8], v[23:24], v[11:12]
	v_fma_f64 v[49:50], v[9:10], v[23:24], -v[13:14]
	s_clause 0x1
	global_load_b128 v[7:10], v[1:2], off offset:42848
	global_load_b128 v[11:14], v[1:2], off offset:46944
	scratch_load_b32 v0, off, off th:TH_LOAD_LU ; 4-byte Folded Reload
	s_wait_loadcnt_dscnt 0x200
	v_mul_f64_e32 v[15:16], v[5:6], v[9:10]
	s_delay_alu instid0(VALU_DEP_1) | instskip(SKIP_1) | instid1(VALU_DEP_1)
	v_fma_f64 v[56:57], v[3:4], v[7:8], v[15:16]
	v_mul_f64_e32 v[3:4], v[3:4], v[9:10]
	v_fma_f64 v[58:59], v[5:6], v[7:8], -v[3:4]
	s_wait_loadcnt 0x0
	global_load_b128 v[3:6], v0, s[8:9] offset:30560
	ds_load_b128 v[7:10], v120 offset:45056
	ds_load_b128 v[15:18], v120 offset:47104
	s_wait_loadcnt_dscnt 0x1
	v_mul_f64_e32 v[19:20], v[9:10], v[5:6]
	v_mul_f64_e32 v[5:6], v[7:8], v[5:6]
	s_delay_alu instid0(VALU_DEP_2) | instskip(NEXT) | instid1(VALU_DEP_2)
	v_fma_f64 v[64:65], v[7:8], v[3:4], v[19:20]
	v_fma_f64 v[66:67], v[9:10], v[3:4], -v[5:6]
	s_wait_dscnt 0x0
	v_mul_f64_e32 v[3:4], v[17:18], v[13:14]
	s_delay_alu instid0(VALU_DEP_1) | instskip(SKIP_1) | instid1(VALU_DEP_1)
	v_fma_f64 v[92:93], v[15:16], v[11:12], v[3:4]
	v_mul_f64_e32 v[3:4], v[15:16], v[13:14]
	v_fma_f64 v[94:95], v[17:18], v[11:12], -v[3:4]
	s_clause 0x1
	global_load_b128 v[3:6], v[1:2], off offset:48992
	global_load_b128 v[7:10], v[1:2], off offset:51040
	ds_load_b128 v[11:14], v120 offset:49152
	ds_load_b128 v[15:18], v120 offset:51200
	s_wait_loadcnt_dscnt 0x101
	v_mul_f64_e32 v[19:20], v[13:14], v[5:6]
	v_mul_f64_e32 v[5:6], v[11:12], v[5:6]
	s_delay_alu instid0(VALU_DEP_2) | instskip(NEXT) | instid1(VALU_DEP_2)
	v_fma_f64 v[96:97], v[11:12], v[3:4], v[19:20]
	v_fma_f64 v[98:99], v[13:14], v[3:4], -v[5:6]
	s_wait_loadcnt_dscnt 0x0
	v_mul_f64_e32 v[3:4], v[17:18], v[9:10]
	s_delay_alu instid0(VALU_DEP_1) | instskip(SKIP_1) | instid1(VALU_DEP_1)
	v_fma_f64 v[100:101], v[15:16], v[7:8], v[3:4]
	v_mul_f64_e32 v[3:4], v[15:16], v[9:10]
	v_fma_f64 v[102:103], v[17:18], v[7:8], -v[3:4]
	s_clause 0x1
	global_load_b128 v[3:6], v[1:2], off offset:53088
	global_load_b128 v[7:10], v[1:2], off offset:55136
	ds_load_b128 v[11:14], v120 offset:53248
	ds_load_b128 v[15:18], v120 offset:55296
	s_wait_loadcnt_dscnt 0x101
	v_mul_f64_e32 v[19:20], v[13:14], v[5:6]
	v_mul_f64_e32 v[5:6], v[11:12], v[5:6]
	s_delay_alu instid0(VALU_DEP_2) | instskip(NEXT) | instid1(VALU_DEP_2)
	v_fma_f64 v[104:105], v[11:12], v[3:4], v[19:20]
	v_fma_f64 v[106:107], v[13:14], v[3:4], -v[5:6]
	s_wait_loadcnt_dscnt 0x0
	v_mul_f64_e32 v[3:4], v[17:18], v[9:10]
	s_delay_alu instid0(VALU_DEP_1) | instskip(SKIP_1) | instid1(VALU_DEP_1)
	v_fma_f64 v[116:117], v[15:16], v[7:8], v[3:4]
	v_mul_f64_e32 v[3:4], v[15:16], v[9:10]
	v_fma_f64 v[118:119], v[17:18], v[7:8], -v[3:4]
	s_clause 0x1
	global_load_b128 v[3:6], v[1:2], off offset:57184
	global_load_b128 v[7:10], v[1:2], off offset:59232
	ds_load_b128 v[11:14], v120 offset:57344
	ds_load_b128 v[15:18], v120 offset:59392
	s_wait_loadcnt_dscnt 0x101
	v_mul_f64_e32 v[0:1], v[13:14], v[5:6]
	s_delay_alu instid0(VALU_DEP_1) | instskip(SKIP_1) | instid1(VALU_DEP_1)
	v_fma_f64 v[121:122], v[11:12], v[3:4], v[0:1]
	v_mul_f64_e32 v[0:1], v[11:12], v[5:6]
	v_fma_f64 v[124:125], v[13:14], v[3:4], -v[0:1]
	s_wait_loadcnt_dscnt 0x0
	v_mul_f64_e32 v[0:1], v[17:18], v[9:10]
	s_delay_alu instid0(VALU_DEP_1) | instskip(SKIP_1) | instid1(VALU_DEP_1)
	v_fma_f64 v[126:127], v[15:16], v[7:8], v[0:1]
	v_mul_f64_e32 v[0:1], v[15:16], v[9:10]
	v_fma_f64 v[128:129], v[17:18], v[7:8], -v[0:1]
	ds_load_b128 v[0:3], v120
	ds_load_b128 v[4:7], v120 offset:2048
	ds_load_b128 v[16:19], v120 offset:4096
	;; [unrolled: 1-line block ×3, first 2 shown]
	s_wait_dscnt 0x3
	v_add_f64_e64 v[8:9], v[0:1], -v[27:28]
	v_add_f64_e64 v[10:11], v[2:3], -v[29:30]
	s_wait_dscnt 0x2
	v_add_f64_e64 v[12:13], v[4:5], -v[31:32]
	v_add_f64_e64 v[14:15], v[6:7], -v[33:34]
	;; [unrolled: 3-line block ×3, first 2 shown]
	s_wait_dscnt 0x0
	v_add_f64_e64 v[28:29], v[20:21], -v[39:40]
	ds_load_b128 v[32:35], v120 offset:8192
	ds_load_b128 v[36:39], v120 offset:10240
	v_add_f64_e64 v[30:31], v[22:23], -v[41:42]
	s_wait_dscnt 0x1
	v_add_f64_e64 v[40:41], v[32:33], -v[43:44]
	v_add_f64_e64 v[42:43], v[34:35], -v[45:46]
	s_wait_dscnt 0x0
	v_add_f64_e64 v[44:45], v[36:37], -v[47:48]
	v_add_f64_e64 v[46:47], v[38:39], -v[49:50]
	ds_load_b128 v[48:51], v120 offset:12288
	ds_load_b128 v[52:55], v120 offset:16384
	ds_load_b128 v[60:63], v123
	ds_load_b128 v[68:71], v120 offset:18432
	ds_load_b128 v[72:75], v120 offset:20480
	;; [unrolled: 1-line block ×6, first 2 shown]
	global_wb scope:SCOPE_SE
	s_wait_dscnt 0x0
	s_barrier_signal -1
	s_barrier_wait -1
	global_inv scope:SCOPE_SE
	v_fma_f64 v[0:1], v[0:1], 2.0, -v[8:9]
	v_fma_f64 v[2:3], v[2:3], 2.0, -v[10:11]
	;; [unrolled: 1-line block ×8, first 2 shown]
	v_add_f64_e64 v[56:57], v[48:49], -v[56:57]
	v_add_f64_e64 v[58:59], v[50:51], -v[58:59]
	;; [unrolled: 1-line block ×4, first 2 shown]
	v_fma_f64 v[32:33], v[32:33], 2.0, -v[40:41]
	v_fma_f64 v[34:35], v[34:35], 2.0, -v[42:43]
	v_fma_f64 v[36:37], v[36:37], 2.0, -v[44:45]
	v_fma_f64 v[38:39], v[38:39], 2.0, -v[46:47]
	v_fma_f64 v[48:49], v[48:49], 2.0, -v[56:57]
	v_fma_f64 v[50:51], v[50:51], 2.0, -v[58:59]
	v_fma_f64 v[60:61], v[60:61], 2.0, -v[64:65]
	v_fma_f64 v[62:63], v[62:63], 2.0, -v[66:67]
	ds_store_b128 v120, v[12:15] offset:32768
	ds_store_b128 v120, v[24:27] offset:34816
	;; [unrolled: 1-line block ×6, first 2 shown]
	ds_store_b128 v120, v[0:3]
	ds_store_b128 v120, v[4:7] offset:2048
	ds_store_b128 v120, v[16:19] offset:4096
	;; [unrolled: 1-line block ×7, first 2 shown]
	ds_store_b128 v123, v[60:63]
	ds_store_b128 v123, v[64:67] offset:30720
	v_add_f64_e64 v[0:1], v[68:69], -v[96:97]
	v_add_f64_e64 v[2:3], v[70:71], -v[98:99]
	;; [unrolled: 1-line block ×14, first 2 shown]
	v_fma_f64 v[4:5], v[68:69], 2.0, -v[0:1]
	v_fma_f64 v[6:7], v[70:71], 2.0, -v[2:3]
	;; [unrolled: 1-line block ×14, first 2 shown]
	ds_store_b128 v120, v[48:51] offset:47104
	ds_store_b128 v120, v[0:3] offset:49152
	;; [unrolled: 1-line block ×14, first 2 shown]
	global_wb scope:SCOPE_SE
	s_wait_dscnt 0x0
	s_barrier_signal -1
	s_barrier_wait -1
	global_inv scope:SCOPE_SE
	s_and_saveexec_b32 s0, vcc_lo
	s_cbranch_execz .LBB0_21
; %bb.20:
	v_mul_lo_u32 v2, s3, v114
	v_mul_lo_u32 v3, s2, v115
	v_mad_co_u64_u32 v[0:1], null, s2, v114, 0
	v_dual_mov_b32 v114, v112 :: v_dual_add_nc_u32 v111, 0x80, v113
	v_lshlrev_b64_e32 v[8:9], 4, v[109:110]
	v_lshl_add_u32 v34, v113, 4, 0
	s_delay_alu instid0(VALU_DEP_3) | instskip(SKIP_3) | instid1(VALU_DEP_3)
	v_lshlrev_b64_e32 v[10:11], 4, v[113:114]
	v_add3_u32 v1, v1, v3, v2
	v_lshlrev_b64_e32 v[16:17], 4, v[111:112]
	v_add_nc_u32_e32 v111, 0x100, v113
	v_lshlrev_b64_e32 v[12:13], 4, v[0:1]
	ds_load_b128 v[0:3], v34
	ds_load_b128 v[4:7], v34 offset:2048
	v_lshlrev_b64_e32 v[18:19], 4, v[111:112]
	v_add_nc_u32_e32 v111, 0x180, v113
	v_add_co_u32 v12, vcc_lo, s6, v12
	s_wait_alu 0xfffd
	v_add_co_ci_u32_e32 v13, vcc_lo, s7, v13, vcc_lo
	s_delay_alu instid0(VALU_DEP_3) | instskip(NEXT) | instid1(VALU_DEP_3)
	v_lshlrev_b64_e32 v[22:23], 4, v[111:112]
	v_add_co_u32 v36, vcc_lo, v12, v8
	s_wait_alu 0xfffd
	s_delay_alu instid0(VALU_DEP_3) | instskip(SKIP_1) | instid1(VALU_DEP_3)
	v_add_co_ci_u32_e32 v37, vcc_lo, v13, v9, vcc_lo
	v_add_nc_u32_e32 v111, 0x200, v113
	v_add_co_u32 v20, vcc_lo, v36, v10
	s_wait_alu 0xfffd
	s_delay_alu instid0(VALU_DEP_3)
	v_add_co_ci_u32_e32 v21, vcc_lo, v37, v11, vcc_lo
	ds_load_b128 v[8:11], v34 offset:4096
	ds_load_b128 v[12:15], v34 offset:6144
	v_add_co_u32 v16, vcc_lo, v36, v16
	s_wait_alu 0xfffd
	v_add_co_ci_u32_e32 v17, vcc_lo, v37, v17, vcc_lo
	v_add_co_u32 v18, vcc_lo, v36, v18
	s_wait_alu 0xfffd
	v_add_co_ci_u32_e32 v19, vcc_lo, v37, v19, vcc_lo
	v_add_co_u32 v22, vcc_lo, v36, v22
	v_lshlrev_b64_e32 v[24:25], 4, v[111:112]
	v_add_nc_u32_e32 v111, 0x280, v113
	s_wait_alu 0xfffd
	v_add_co_ci_u32_e32 v23, vcc_lo, v37, v23, vcc_lo
	s_wait_dscnt 0x3
	global_store_b128 v[20:21], v[0:3], off
	s_wait_dscnt 0x2
	global_store_b128 v[16:17], v[4:7], off
	;; [unrolled: 2-line block ×4, first 2 shown]
	v_lshlrev_b64_e32 v[16:17], 4, v[111:112]
	v_add_nc_u32_e32 v111, 0x300, v113
	ds_load_b128 v[0:3], v34 offset:8192
	ds_load_b128 v[4:7], v34 offset:10240
	;; [unrolled: 1-line block ×4, first 2 shown]
	v_add_co_u32 v18, vcc_lo, v36, v24
	v_lshlrev_b64_e32 v[20:21], 4, v[111:112]
	v_add_nc_u32_e32 v111, 0x380, v113
	s_wait_alu 0xfffd
	v_add_co_ci_u32_e32 v19, vcc_lo, v37, v25, vcc_lo
	v_add_co_u32 v16, vcc_lo, v36, v16
	s_delay_alu instid0(VALU_DEP_3)
	v_lshlrev_b64_e32 v[22:23], 4, v[111:112]
	v_add_nc_u32_e32 v111, 0x400, v113
	s_wait_alu 0xfffd
	v_add_co_ci_u32_e32 v17, vcc_lo, v37, v17, vcc_lo
	v_add_co_u32 v20, vcc_lo, v36, v20
	s_wait_alu 0xfffd
	v_add_co_ci_u32_e32 v21, vcc_lo, v37, v21, vcc_lo
	v_add_co_u32 v22, vcc_lo, v36, v22
	v_lshlrev_b64_e32 v[24:25], 4, v[111:112]
	v_add_nc_u32_e32 v111, 0x480, v113
	s_wait_alu 0xfffd
	v_add_co_ci_u32_e32 v23, vcc_lo, v37, v23, vcc_lo
	s_wait_dscnt 0x3
	global_store_b128 v[18:19], v[0:3], off
	s_wait_dscnt 0x2
	global_store_b128 v[16:17], v[4:7], off
	s_wait_dscnt 0x1
	global_store_b128 v[20:21], v[8:11], off
	s_wait_dscnt 0x0
	global_store_b128 v[22:23], v[12:15], off
	ds_load_b128 v[0:3], v34 offset:16384
	ds_load_b128 v[4:7], v34 offset:18432
	v_lshlrev_b64_e32 v[16:17], 4, v[111:112]
	v_add_nc_u32_e32 v111, 0x500, v113
	ds_load_b128 v[8:11], v34 offset:20480
	ds_load_b128 v[12:15], v34 offset:22528
	v_add_co_u32 v18, vcc_lo, v36, v24
	s_wait_alu 0xfffd
	v_add_co_ci_u32_e32 v19, vcc_lo, v37, v25, vcc_lo
	v_lshlrev_b64_e32 v[20:21], 4, v[111:112]
	v_add_nc_u32_e32 v111, 0x580, v113
	v_add_co_u32 v16, vcc_lo, v36, v16
	s_wait_alu 0xfffd
	v_add_co_ci_u32_e32 v17, vcc_lo, v37, v17, vcc_lo
	s_delay_alu instid0(VALU_DEP_3) | instskip(SKIP_4) | instid1(VALU_DEP_4)
	v_lshlrev_b64_e32 v[22:23], 4, v[111:112]
	v_add_nc_u32_e32 v111, 0x600, v113
	v_add_co_u32 v20, vcc_lo, v36, v20
	s_wait_alu 0xfffd
	v_add_co_ci_u32_e32 v21, vcc_lo, v37, v21, vcc_lo
	v_add_co_u32 v22, vcc_lo, v36, v22
	v_lshlrev_b64_e32 v[24:25], 4, v[111:112]
	v_add_nc_u32_e32 v111, 0x680, v113
	s_wait_alu 0xfffd
	v_add_co_ci_u32_e32 v23, vcc_lo, v37, v23, vcc_lo
	s_wait_dscnt 0x3
	global_store_b128 v[18:19], v[0:3], off
	s_wait_dscnt 0x2
	global_store_b128 v[16:17], v[4:7], off
	s_wait_dscnt 0x1
	global_store_b128 v[20:21], v[8:11], off
	s_wait_dscnt 0x0
	global_store_b128 v[22:23], v[12:15], off
	ds_load_b128 v[0:3], v34 offset:24576
	ds_load_b128 v[4:7], v34 offset:26624
	v_lshlrev_b64_e32 v[16:17], 4, v[111:112]
	v_add_nc_u32_e32 v111, 0x700, v113
	ds_load_b128 v[8:11], v34 offset:28672
	ds_load_b128 v[12:15], v34 offset:30720
	v_add_co_u32 v18, vcc_lo, v36, v24
	s_wait_alu 0xfffd
	v_add_co_ci_u32_e32 v19, vcc_lo, v37, v25, vcc_lo
	v_lshlrev_b64_e32 v[20:21], 4, v[111:112]
	v_add_nc_u32_e32 v111, 0x780, v113
	v_add_co_u32 v16, vcc_lo, v36, v16
	s_wait_alu 0xfffd
	v_add_co_ci_u32_e32 v17, vcc_lo, v37, v17, vcc_lo
	s_delay_alu instid0(VALU_DEP_3) | instskip(SKIP_4) | instid1(VALU_DEP_4)
	v_lshlrev_b64_e32 v[22:23], 4, v[111:112]
	v_add_nc_u32_e32 v111, 0x800, v113
	;; [unrolled: 33-line block ×3, first 2 shown]
	v_add_co_u32 v20, vcc_lo, v36, v20
	s_wait_alu 0xfffd
	v_add_co_ci_u32_e32 v21, vcc_lo, v37, v21, vcc_lo
	v_add_co_u32 v22, vcc_lo, v36, v22
	v_lshlrev_b64_e32 v[24:25], 4, v[111:112]
	v_add_nc_u32_e32 v111, 0xa80, v113
	s_wait_alu 0xfffd
	v_add_co_ci_u32_e32 v23, vcc_lo, v37, v23, vcc_lo
	s_wait_dscnt 0x3
	global_store_b128 v[18:19], v[0:3], off
	s_wait_dscnt 0x2
	global_store_b128 v[16:17], v[4:7], off
	;; [unrolled: 2-line block ×4, first 2 shown]
	ds_load_b128 v[0:3], v34 offset:40960
	ds_load_b128 v[4:7], v34 offset:43008
	v_lshlrev_b64_e32 v[16:17], 4, v[111:112]
	v_add_nc_u32_e32 v111, 0xb00, v113
	ds_load_b128 v[8:11], v34 offset:45056
	ds_load_b128 v[12:15], v34 offset:47104
	v_add_co_u32 v18, vcc_lo, v36, v24
	s_wait_alu 0xfffd
	v_add_co_ci_u32_e32 v19, vcc_lo, v37, v25, vcc_lo
	v_lshlrev_b64_e32 v[20:21], 4, v[111:112]
	v_add_nc_u32_e32 v111, 0xb80, v113
	v_add_co_u32 v16, vcc_lo, v36, v16
	s_wait_alu 0xfffd
	v_add_co_ci_u32_e32 v17, vcc_lo, v37, v17, vcc_lo
	s_delay_alu instid0(VALU_DEP_3) | instskip(SKIP_4) | instid1(VALU_DEP_3)
	v_lshlrev_b64_e32 v[22:23], 4, v[111:112]
	v_add_nc_u32_e32 v111, 0xc00, v113
	v_add_co_u32 v20, vcc_lo, v36, v20
	s_wait_alu 0xfffd
	v_add_co_ci_u32_e32 v21, vcc_lo, v37, v21, vcc_lo
	v_lshlrev_b64_e32 v[24:25], 4, v[111:112]
	v_add_nc_u32_e32 v111, 0xc80, v113
	v_add_co_u32 v22, vcc_lo, v36, v22
	s_wait_alu 0xfffd
	v_add_co_ci_u32_e32 v23, vcc_lo, v37, v23, vcc_lo
	s_wait_dscnt 0x3
	global_store_b128 v[18:19], v[0:3], off
	s_wait_dscnt 0x2
	global_store_b128 v[16:17], v[4:7], off
	s_wait_dscnt 0x1
	global_store_b128 v[20:21], v[8:11], off
	s_wait_dscnt 0x0
	global_store_b128 v[22:23], v[12:15], off
	v_lshlrev_b64_e32 v[8:9], 4, v[111:112]
	v_add_nc_u32_e32 v111, 0xd00, v113
	v_add_co_u32 v24, vcc_lo, v36, v24
	s_wait_alu 0xfffd
	v_add_co_ci_u32_e32 v25, vcc_lo, v37, v25, vcc_lo
	s_delay_alu instid0(VALU_DEP_3) | instskip(SKIP_4) | instid1(VALU_DEP_4)
	v_lshlrev_b64_e32 v[10:11], 4, v[111:112]
	v_add_co_u32 v26, vcc_lo, v36, v8
	v_add_nc_u32_e32 v111, 0xd80, v113
	s_wait_alu 0xfffd
	v_add_co_ci_u32_e32 v27, vcc_lo, v37, v9, vcc_lo
	v_add_co_u32 v30, vcc_lo, v36, v10
	ds_load_b128 v[0:3], v34 offset:49152
	ds_load_b128 v[4:7], v34 offset:51200
	s_wait_alu 0xfffd
	v_add_co_ci_u32_e32 v31, vcc_lo, v37, v11, vcc_lo
	ds_load_b128 v[8:11], v34 offset:53248
	ds_load_b128 v[12:15], v34 offset:55296
	;; [unrolled: 1-line block ×4, first 2 shown]
	v_lshlrev_b64_e32 v[28:29], 4, v[111:112]
	v_add_nc_u32_e32 v111, 0xe00, v113
	s_delay_alu instid0(VALU_DEP_1) | instskip(SKIP_1) | instid1(VALU_DEP_4)
	v_lshlrev_b64_e32 v[32:33], 4, v[111:112]
	v_add_nc_u32_e32 v111, 0xe80, v113
	v_add_co_u32 v28, vcc_lo, v36, v28
	s_wait_alu 0xfffd
	v_add_co_ci_u32_e32 v29, vcc_lo, v37, v29, vcc_lo
	s_delay_alu instid0(VALU_DEP_3) | instskip(SKIP_3) | instid1(VALU_DEP_3)
	v_lshlrev_b64_e32 v[34:35], 4, v[111:112]
	v_add_co_u32 v32, vcc_lo, v36, v32
	s_wait_alu 0xfffd
	v_add_co_ci_u32_e32 v33, vcc_lo, v37, v33, vcc_lo
	v_add_co_u32 v34, vcc_lo, v36, v34
	s_wait_alu 0xfffd
	v_add_co_ci_u32_e32 v35, vcc_lo, v37, v35, vcc_lo
	s_wait_dscnt 0x5
	global_store_b128 v[24:25], v[0:3], off
	s_wait_dscnt 0x4
	global_store_b128 v[26:27], v[4:7], off
	;; [unrolled: 2-line block ×6, first 2 shown]
.LBB0_21:
	s_nop 0
	s_sendmsg sendmsg(MSG_DEALLOC_VGPRS)
	s_endpgm
	.section	.rodata,"a",@progbits
	.p2align	6, 0x0
	.amdhsa_kernel fft_rtc_back_len3840_factors_10_6_2_2_2_2_2_2_wgs_128_tpt_128_halfLds_dp_op_CI_CI_unitstride_sbrr_C2R_dirReg
		.amdhsa_group_segment_fixed_size 0
		.amdhsa_private_segment_fixed_size 32
		.amdhsa_kernarg_size 104
		.amdhsa_user_sgpr_count 2
		.amdhsa_user_sgpr_dispatch_ptr 0
		.amdhsa_user_sgpr_queue_ptr 0
		.amdhsa_user_sgpr_kernarg_segment_ptr 1
		.amdhsa_user_sgpr_dispatch_id 0
		.amdhsa_user_sgpr_private_segment_size 0
		.amdhsa_wavefront_size32 1
		.amdhsa_uses_dynamic_stack 0
		.amdhsa_enable_private_segment 1
		.amdhsa_system_sgpr_workgroup_id_x 1
		.amdhsa_system_sgpr_workgroup_id_y 0
		.amdhsa_system_sgpr_workgroup_id_z 0
		.amdhsa_system_sgpr_workgroup_info 0
		.amdhsa_system_vgpr_workitem_id 0
		.amdhsa_next_free_vgpr 256
		.amdhsa_next_free_sgpr 39
		.amdhsa_reserve_vcc 1
		.amdhsa_float_round_mode_32 0
		.amdhsa_float_round_mode_16_64 0
		.amdhsa_float_denorm_mode_32 3
		.amdhsa_float_denorm_mode_16_64 3
		.amdhsa_fp16_overflow 0
		.amdhsa_workgroup_processor_mode 1
		.amdhsa_memory_ordered 1
		.amdhsa_forward_progress 0
		.amdhsa_round_robin_scheduling 0
		.amdhsa_exception_fp_ieee_invalid_op 0
		.amdhsa_exception_fp_denorm_src 0
		.amdhsa_exception_fp_ieee_div_zero 0
		.amdhsa_exception_fp_ieee_overflow 0
		.amdhsa_exception_fp_ieee_underflow 0
		.amdhsa_exception_fp_ieee_inexact 0
		.amdhsa_exception_int_div_zero 0
	.end_amdhsa_kernel
	.text
.Lfunc_end0:
	.size	fft_rtc_back_len3840_factors_10_6_2_2_2_2_2_2_wgs_128_tpt_128_halfLds_dp_op_CI_CI_unitstride_sbrr_C2R_dirReg, .Lfunc_end0-fft_rtc_back_len3840_factors_10_6_2_2_2_2_2_2_wgs_128_tpt_128_halfLds_dp_op_CI_CI_unitstride_sbrr_C2R_dirReg
                                        ; -- End function
	.section	.AMDGPU.csdata,"",@progbits
; Kernel info:
; codeLenInByte = 28756
; NumSgprs: 41
; NumVgprs: 256
; ScratchSize: 32
; MemoryBound: 0
; FloatMode: 240
; IeeeMode: 1
; LDSByteSize: 0 bytes/workgroup (compile time only)
; SGPRBlocks: 5
; VGPRBlocks: 31
; NumSGPRsForWavesPerEU: 41
; NumVGPRsForWavesPerEU: 256
; Occupancy: 5
; WaveLimiterHint : 1
; COMPUTE_PGM_RSRC2:SCRATCH_EN: 1
; COMPUTE_PGM_RSRC2:USER_SGPR: 2
; COMPUTE_PGM_RSRC2:TRAP_HANDLER: 0
; COMPUTE_PGM_RSRC2:TGID_X_EN: 1
; COMPUTE_PGM_RSRC2:TGID_Y_EN: 0
; COMPUTE_PGM_RSRC2:TGID_Z_EN: 0
; COMPUTE_PGM_RSRC2:TIDIG_COMP_CNT: 0
	.text
	.p2alignl 7, 3214868480
	.fill 96, 4, 3214868480
	.type	__hip_cuid_7b25869c697be24a,@object ; @__hip_cuid_7b25869c697be24a
	.section	.bss,"aw",@nobits
	.globl	__hip_cuid_7b25869c697be24a
__hip_cuid_7b25869c697be24a:
	.byte	0                               ; 0x0
	.size	__hip_cuid_7b25869c697be24a, 1

	.ident	"AMD clang version 19.0.0git (https://github.com/RadeonOpenCompute/llvm-project roc-6.4.0 25133 c7fe45cf4b819c5991fe208aaa96edf142730f1d)"
	.section	".note.GNU-stack","",@progbits
	.addrsig
	.addrsig_sym __hip_cuid_7b25869c697be24a
	.amdgpu_metadata
---
amdhsa.kernels:
  - .args:
      - .actual_access:  read_only
        .address_space:  global
        .offset:         0
        .size:           8
        .value_kind:     global_buffer
      - .offset:         8
        .size:           8
        .value_kind:     by_value
      - .actual_access:  read_only
        .address_space:  global
        .offset:         16
        .size:           8
        .value_kind:     global_buffer
      - .actual_access:  read_only
        .address_space:  global
        .offset:         24
        .size:           8
        .value_kind:     global_buffer
      - .actual_access:  read_only
        .address_space:  global
        .offset:         32
        .size:           8
        .value_kind:     global_buffer
      - .offset:         40
        .size:           8
        .value_kind:     by_value
      - .actual_access:  read_only
        .address_space:  global
        .offset:         48
        .size:           8
        .value_kind:     global_buffer
      - .actual_access:  read_only
        .address_space:  global
        .offset:         56
        .size:           8
        .value_kind:     global_buffer
      - .offset:         64
        .size:           4
        .value_kind:     by_value
      - .actual_access:  read_only
        .address_space:  global
        .offset:         72
        .size:           8
        .value_kind:     global_buffer
      - .actual_access:  read_only
        .address_space:  global
        .offset:         80
        .size:           8
        .value_kind:     global_buffer
      - .actual_access:  read_only
        .address_space:  global
        .offset:         88
        .size:           8
        .value_kind:     global_buffer
      - .actual_access:  write_only
        .address_space:  global
        .offset:         96
        .size:           8
        .value_kind:     global_buffer
    .group_segment_fixed_size: 0
    .kernarg_segment_align: 8
    .kernarg_segment_size: 104
    .language:       OpenCL C
    .language_version:
      - 2
      - 0
    .max_flat_workgroup_size: 128
    .name:           fft_rtc_back_len3840_factors_10_6_2_2_2_2_2_2_wgs_128_tpt_128_halfLds_dp_op_CI_CI_unitstride_sbrr_C2R_dirReg
    .private_segment_fixed_size: 32
    .sgpr_count:     41
    .sgpr_spill_count: 0
    .symbol:         fft_rtc_back_len3840_factors_10_6_2_2_2_2_2_2_wgs_128_tpt_128_halfLds_dp_op_CI_CI_unitstride_sbrr_C2R_dirReg.kd
    .uniform_work_group_size: 1
    .uses_dynamic_stack: false
    .vgpr_count:     256
    .vgpr_spill_count: 7
    .wavefront_size: 32
    .workgroup_processor_mode: 1
amdhsa.target:   amdgcn-amd-amdhsa--gfx1201
amdhsa.version:
  - 1
  - 2
...

	.end_amdgpu_metadata
